;; amdgpu-corpus repo=ROCm/rocFFT kind=compiled arch=gfx906 opt=O3
	.text
	.amdgcn_target "amdgcn-amd-amdhsa--gfx906"
	.amdhsa_code_object_version 6
	.protected	bluestein_single_back_len170_dim1_half_op_CI_CI ; -- Begin function bluestein_single_back_len170_dim1_half_op_CI_CI
	.globl	bluestein_single_back_len170_dim1_half_op_CI_CI
	.p2align	8
	.type	bluestein_single_back_len170_dim1_half_op_CI_CI,@function
bluestein_single_back_len170_dim1_half_op_CI_CI: ; @bluestein_single_back_len170_dim1_half_op_CI_CI
; %bb.0:
	v_mul_u32_u24_e32 v1, 0xf10, v0
	s_load_dwordx4 s[0:3], s[4:5], 0x28
	v_lshrrev_b32_e32 v1, 16, v1
	v_mad_u64_u32 v[8:9], s[6:7], s6, 7, v[1:2]
	v_mov_b32_e32 v9, 0
	s_waitcnt lgkmcnt(0)
	v_cmp_gt_u64_e32 vcc, s[0:1], v[8:9]
	s_and_saveexec_b64 s[0:1], vcc
	s_cbranch_execz .LBB0_15
; %bb.1:
	s_mov_b32 s0, 0x24924925
	v_mul_hi_u32 v2, v8, s0
	s_load_dwordx2 s[6:7], s[4:5], 0x0
	s_load_dwordx2 s[12:13], s[4:5], 0x38
	v_mul_lo_u16_e32 v1, 17, v1
	v_sub_u16_e32 v25, v0, v1
	v_sub_u32_e32 v3, v8, v2
	v_lshrrev_b32_e32 v3, 1, v3
	v_add_u32_e32 v2, v3, v2
	v_lshrrev_b32_e32 v2, 2, v2
	v_mul_lo_u32 v2, v2, 7
	v_cmp_gt_u16_e32 vcc, 10, v25
	v_lshlrev_b32_e32 v26, 2, v25
	v_sub_u32_e32 v0, v8, v2
	v_mul_u32_u24_e32 v23, 0xaa, v0
	v_lshlrev_b32_e32 v28, 2, v23
	s_and_saveexec_b64 s[14:15], vcc
	s_cbranch_execz .LBB0_3
; %bb.2:
	s_load_dwordx2 s[0:1], s[4:5], 0x18
	v_lshl_add_u32 v18, v25, 2, v28
	v_or_b32_e32 v35, 0xa0, v25
	v_add_u32_e32 v19, v28, v26
	s_waitcnt lgkmcnt(0)
	s_load_dwordx4 s[8:11], s[0:1], 0x0
	s_waitcnt lgkmcnt(0)
	v_mad_u64_u32 v[0:1], s[0:1], s10, v8, 0
	v_mad_u64_u32 v[2:3], s[0:1], s8, v25, 0
	;; [unrolled: 1-line block ×4, first 2 shown]
	v_mov_b32_e32 v1, v4
	v_lshlrev_b64 v[0:1], 2, v[0:1]
	v_mov_b32_e32 v3, v5
	v_mov_b32_e32 v6, s3
	v_lshlrev_b64 v[2:3], 2, v[2:3]
	v_add_co_u32_e64 v5, s[0:1], s2, v0
	v_addc_co_u32_e64 v6, s[0:1], v6, v1, s[0:1]
	v_add_co_u32_e64 v0, s[0:1], v5, v2
	v_addc_co_u32_e64 v1, s[0:1], v6, v3, s[0:1]
	s_mul_i32 s0, s9, 40
	s_mul_hi_u32 s2, s8, 40
	s_add_i32 s2, s2, s0
	s_mul_i32 s3, s8, 40
	v_mov_b32_e32 v3, s2
	v_add_co_u32_e64 v2, s[0:1], s3, v0
	v_addc_co_u32_e64 v3, s[0:1], v1, v3, s[0:1]
	global_load_dword v7, v[0:1], off
	global_load_dword v9, v[2:3], off
	global_load_dword v10, v26, s[6:7]
	global_load_dword v11, v26, s[6:7] offset:40
	v_mov_b32_e32 v1, s2
	v_add_co_u32_e64 v0, s[0:1], s3, v2
	v_addc_co_u32_e64 v1, s[0:1], v3, v1, s[0:1]
	global_load_dword v12, v[0:1], off
	global_load_dword v13, v26, s[6:7] offset:80
	v_mov_b32_e32 v2, s2
	v_add_co_u32_e64 v0, s[0:1], s3, v0
	v_addc_co_u32_e64 v1, s[0:1], v1, v2, s[0:1]
	global_load_dword v14, v[0:1], off
	global_load_dword v15, v26, s[6:7] offset:120
	v_add_co_u32_e64 v0, s[0:1], s3, v0
	v_or_b32_e32 v4, 0x50, v25
	v_addc_co_u32_e64 v1, s[0:1], v1, v2, s[0:1]
	v_mad_u64_u32 v[2:3], s[0:1], s8, v4, 0
	global_load_dword v16, v[0:1], off
	global_load_dword v17, v26, s[6:7] offset:160
	v_mov_b32_e32 v24, s2
	v_mad_u64_u32 v[3:4], s[0:1], s9, v4, v[3:4]
	v_add_co_u32_e64 v0, s[0:1], s3, v0
	v_addc_co_u32_e64 v1, s[0:1], v1, v24, s[0:1]
	global_load_dword v20, v26, s[6:7] offset:200
	global_load_dword v21, v26, s[6:7] offset:240
	;; [unrolled: 1-line block ×3, first 2 shown]
	global_load_dword v24, v[0:1], off
	v_mov_b32_e32 v27, s2
	v_add_co_u32_e64 v0, s[0:1], s3, v0
	v_addc_co_u32_e64 v1, s[0:1], v1, v27, s[0:1]
	global_load_dword v27, v[0:1], off
	v_mov_b32_e32 v29, s2
	v_add_co_u32_e64 v0, s[0:1], s3, v0
	v_addc_co_u32_e64 v1, s[0:1], v1, v29, s[0:1]
	v_lshlrev_b64 v[2:3], 2, v[2:3]
	v_mov_b32_e32 v37, s2
	v_mov_b32_e32 v40, s2
	s_waitcnt vmcnt(14)
	v_lshrrev_b32_e32 v4, 16, v7
	s_waitcnt vmcnt(13)
	v_lshrrev_b32_e32 v31, 16, v9
	s_waitcnt vmcnt(12)
	v_mul_f16_sdwa v30, v10, v7 dst_sel:DWORD dst_unused:UNUSED_PAD src0_sel:WORD_1 src1_sel:DWORD
	v_fma_f16 v30, v10, v4, -v30
	v_mul_f16_sdwa v4, v10, v4 dst_sel:DWORD dst_unused:UNUSED_PAD src0_sel:WORD_1 src1_sel:DWORD
	s_waitcnt vmcnt(11)
	v_mul_f16_sdwa v32, v11, v9 dst_sel:DWORD dst_unused:UNUSED_PAD src0_sel:WORD_1 src1_sel:DWORD
	v_fma_f16 v4, v10, v7, v4
	v_fma_f16 v7, v11, v31, -v32
	v_mul_f16_sdwa v10, v11, v31 dst_sel:DWORD dst_unused:UNUSED_PAD src0_sel:WORD_1 src1_sel:DWORD
	s_waitcnt vmcnt(10)
	v_lshrrev_b32_e32 v31, 16, v12
	s_waitcnt vmcnt(9)
	v_mul_f16_sdwa v32, v13, v12 dst_sel:DWORD dst_unused:UNUSED_PAD src0_sel:WORD_1 src1_sel:DWORD
	v_fma_f16 v9, v11, v9, v10
	v_pack_b32_f16 v4, v4, v30
	v_mul_f16_sdwa v10, v13, v31 dst_sel:DWORD dst_unused:UNUSED_PAD src0_sel:WORD_1 src1_sel:DWORD
	v_fma_f16 v11, v13, v31, -v32
	s_waitcnt vmcnt(8)
	v_lshrrev_b32_e32 v30, 16, v14
	ds_write_b32 v18, v4
	v_fma_f16 v4, v13, v12, v10
	v_pack_b32_f16 v7, v9, v7
	s_waitcnt vmcnt(7)
	v_mul_f16_sdwa v9, v15, v30 dst_sel:DWORD dst_unused:UNUSED_PAD src0_sel:WORD_1 src1_sel:DWORD
	v_pack_b32_f16 v11, v4, v11
	v_mov_b32_e32 v4, 0x50
	v_mul_f16_sdwa v31, v15, v14 dst_sel:DWORD dst_unused:UNUSED_PAD src0_sel:WORD_1 src1_sel:DWORD
	v_fma_f16 v9, v15, v14, v9
	global_load_dword v14, v[0:1], off
	v_mad_u64_u32 v[0:1], s[0:1], s8, v4, v[0:1]
	v_add_co_u32_e64 v2, s[0:1], v5, v2
	v_addc_co_u32_e64 v3, s[0:1], v6, v3, s[0:1]
	s_mul_i32 s0, s9, 0x50
	v_fma_f16 v10, v15, v30, -v31
	global_load_dword v15, v[2:3], off
	v_add_u32_e32 v1, s0, v1
	global_load_dword v18, v[0:1], off
	global_load_dword v29, v26, s[6:7] offset:320
	v_mov_b32_e32 v2, s2
	v_add_co_u32_e64 v0, s[0:1], s3, v0
	v_addc_co_u32_e64 v1, s[0:1], v1, v2, s[0:1]
	global_load_dword v30, v[0:1], off
	v_add_co_u32_e64 v0, s[0:1], s3, v0
	v_addc_co_u32_e64 v1, s[0:1], v1, v2, s[0:1]
	global_load_dword v31, v26, s[6:7] offset:360
	global_load_dword v32, v[0:1], off
	global_load_dword v33, v26, s[6:7] offset:400
	v_add_co_u32_e64 v0, s[0:1], s3, v0
	global_load_dword v36, v26, s[6:7] offset:440
	global_load_dword v38, v26, s[6:7] offset:480
	v_addc_co_u32_e64 v1, s[0:1], v1, v2, s[0:1]
	global_load_dword v34, v[0:1], off
	v_mad_u64_u32 v[2:3], s[0:1], s8, v35, 0
	v_mov_b32_e32 v4, s2
	v_add_co_u32_e64 v0, s[0:1], s3, v0
	v_addc_co_u32_e64 v1, s[0:1], v1, v4, s[0:1]
	v_mad_u64_u32 v[3:4], s[0:1], s9, v35, v[3:4]
	global_load_dword v4, v[0:1], off
	global_load_dword v35, v26, s[6:7] offset:520
	v_add_co_u32_e64 v0, s[0:1], s3, v0
	v_addc_co_u32_e64 v1, s[0:1], v1, v37, s[0:1]
	global_load_dword v37, v[0:1], off
	global_load_dword v39, v26, s[6:7] offset:560
	v_add_co_u32_e64 v0, s[0:1], s3, v0
	v_lshlrev_b64 v[2:3], 2, v[2:3]
	v_addc_co_u32_e64 v1, s[0:1], v1, v40, s[0:1]
	global_load_dword v40, v[0:1], off
	global_load_dword v41, v26, s[6:7] offset:600
	v_add_co_u32_e64 v0, s[0:1], v5, v2
	v_addc_co_u32_e64 v1, s[0:1], v6, v3, s[0:1]
	global_load_dword v2, v[0:1], off
	global_load_dword v3, v26, s[6:7] offset:640
	s_waitcnt vmcnt(25)
	v_lshrrev_b32_e32 v12, 16, v16
	s_waitcnt vmcnt(24)
	v_mul_f16_sdwa v13, v17, v16 dst_sel:DWORD dst_unused:UNUSED_PAD src0_sel:WORD_1 src1_sel:DWORD
	v_mul_f16_sdwa v0, v17, v12 dst_sel:DWORD dst_unused:UNUSED_PAD src0_sel:WORD_1 src1_sel:DWORD
	v_fma_f16 v1, v17, v12, -v13
	v_fma_f16 v0, v17, v16, v0
	v_pack_b32_f16 v5, v9, v10
	v_pack_b32_f16 v0, v0, v1
	ds_write2_b32 v19, v5, v0 offset0:30 offset1:40
	s_waitcnt vmcnt(20)
	v_lshrrev_b32_e32 v0, 16, v24
	v_mul_f16_sdwa v1, v20, v0 dst_sel:DWORD dst_unused:UNUSED_PAD src0_sel:WORD_1 src1_sel:DWORD
	v_mul_f16_sdwa v5, v20, v24 dst_sel:DWORD dst_unused:UNUSED_PAD src0_sel:WORD_1 src1_sel:DWORD
	v_fma_f16 v1, v20, v24, v1
	v_fma_f16 v0, v20, v0, -v5
	v_pack_b32_f16 v0, v1, v0
	s_waitcnt vmcnt(19)
	v_lshrrev_b32_e32 v1, 16, v27
	v_mul_f16_sdwa v5, v21, v1 dst_sel:DWORD dst_unused:UNUSED_PAD src0_sel:WORD_1 src1_sel:DWORD
	v_mul_f16_sdwa v6, v21, v27 dst_sel:DWORD dst_unused:UNUSED_PAD src0_sel:WORD_1 src1_sel:DWORD
	v_fma_f16 v5, v21, v27, v5
	v_fma_f16 v1, v21, v1, -v6
	v_pack_b32_f16 v1, v5, v1
	ds_write2_b32 v19, v0, v1 offset0:50 offset1:60
	ds_write2_b32 v19, v7, v11 offset0:10 offset1:20
	s_waitcnt vmcnt(18)
	v_lshrrev_b32_e32 v0, 16, v14
	v_mul_f16_sdwa v1, v22, v0 dst_sel:DWORD dst_unused:UNUSED_PAD src0_sel:WORD_1 src1_sel:DWORD
	v_mul_f16_sdwa v5, v22, v14 dst_sel:DWORD dst_unused:UNUSED_PAD src0_sel:WORD_1 src1_sel:DWORD
	v_fma_f16 v1, v22, v14, v1
	v_fma_f16 v0, v22, v0, -v5
	v_pack_b32_f16 v0, v1, v0
	s_waitcnt vmcnt(17)
	v_lshrrev_b32_e32 v1, 16, v15
	s_waitcnt vmcnt(15)
	v_mul_f16_sdwa v5, v29, v1 dst_sel:DWORD dst_unused:UNUSED_PAD src0_sel:WORD_1 src1_sel:DWORD
	v_mul_f16_sdwa v6, v29, v15 dst_sel:DWORD dst_unused:UNUSED_PAD src0_sel:WORD_1 src1_sel:DWORD
	v_fma_f16 v5, v29, v15, v5
	v_fma_f16 v1, v29, v1, -v6
	v_pack_b32_f16 v1, v5, v1
	ds_write2_b32 v19, v0, v1 offset0:70 offset1:80
	v_lshrrev_b32_e32 v0, 16, v18
	s_waitcnt vmcnt(13)
	v_mul_f16_sdwa v1, v31, v0 dst_sel:DWORD dst_unused:UNUSED_PAD src0_sel:WORD_1 src1_sel:DWORD
	v_mul_f16_sdwa v5, v31, v18 dst_sel:DWORD dst_unused:UNUSED_PAD src0_sel:WORD_1 src1_sel:DWORD
	v_fma_f16 v1, v31, v18, v1
	v_fma_f16 v0, v31, v0, -v5
	v_pack_b32_f16 v0, v1, v0
	v_lshrrev_b32_e32 v1, 16, v30
	s_waitcnt vmcnt(11)
	v_mul_f16_sdwa v5, v33, v1 dst_sel:DWORD dst_unused:UNUSED_PAD src0_sel:WORD_1 src1_sel:DWORD
	v_mul_f16_sdwa v6, v33, v30 dst_sel:DWORD dst_unused:UNUSED_PAD src0_sel:WORD_1 src1_sel:DWORD
	v_fma_f16 v5, v33, v30, v5
	v_fma_f16 v1, v33, v1, -v6
	v_pack_b32_f16 v1, v5, v1
	ds_write2_b32 v19, v0, v1 offset0:90 offset1:100
	v_lshrrev_b32_e32 v0, 16, v32
	s_waitcnt vmcnt(10)
	v_mul_f16_sdwa v1, v36, v0 dst_sel:DWORD dst_unused:UNUSED_PAD src0_sel:WORD_1 src1_sel:DWORD
	v_mul_f16_sdwa v5, v36, v32 dst_sel:DWORD dst_unused:UNUSED_PAD src0_sel:WORD_1 src1_sel:DWORD
	v_fma_f16 v1, v36, v32, v1
	v_fma_f16 v0, v36, v0, -v5
	v_pack_b32_f16 v0, v1, v0
	s_waitcnt vmcnt(8)
	v_lshrrev_b32_e32 v1, 16, v34
	v_mul_f16_sdwa v5, v38, v1 dst_sel:DWORD dst_unused:UNUSED_PAD src0_sel:WORD_1 src1_sel:DWORD
	v_mul_f16_sdwa v6, v38, v34 dst_sel:DWORD dst_unused:UNUSED_PAD src0_sel:WORD_1 src1_sel:DWORD
	v_fma_f16 v5, v38, v34, v5
	v_fma_f16 v1, v38, v1, -v6
	v_pack_b32_f16 v1, v5, v1
	ds_write2_b32 v19, v0, v1 offset0:110 offset1:120
	s_waitcnt vmcnt(7)
	v_lshrrev_b32_e32 v0, 16, v4
	s_waitcnt vmcnt(6)
	v_mul_f16_sdwa v1, v35, v0 dst_sel:DWORD dst_unused:UNUSED_PAD src0_sel:WORD_1 src1_sel:DWORD
	v_fma_f16 v1, v35, v4, v1
	v_mul_f16_sdwa v4, v35, v4 dst_sel:DWORD dst_unused:UNUSED_PAD src0_sel:WORD_1 src1_sel:DWORD
	v_fma_f16 v0, v35, v0, -v4
	v_pack_b32_f16 v0, v1, v0
	s_waitcnt vmcnt(5)
	v_lshrrev_b32_e32 v1, 16, v37
	s_waitcnt vmcnt(4)
	v_mul_f16_sdwa v4, v39, v1 dst_sel:DWORD dst_unused:UNUSED_PAD src0_sel:WORD_1 src1_sel:DWORD
	v_mul_f16_sdwa v5, v39, v37 dst_sel:DWORD dst_unused:UNUSED_PAD src0_sel:WORD_1 src1_sel:DWORD
	v_fma_f16 v4, v39, v37, v4
	v_fma_f16 v1, v39, v1, -v5
	v_pack_b32_f16 v1, v4, v1
	ds_write2_b32 v19, v0, v1 offset0:130 offset1:140
	s_waitcnt vmcnt(3)
	v_lshrrev_b32_e32 v0, 16, v40
	s_waitcnt vmcnt(2)
	v_mul_f16_sdwa v1, v41, v0 dst_sel:DWORD dst_unused:UNUSED_PAD src0_sel:WORD_1 src1_sel:DWORD
	v_mul_f16_sdwa v4, v41, v40 dst_sel:DWORD dst_unused:UNUSED_PAD src0_sel:WORD_1 src1_sel:DWORD
	v_fma_f16 v1, v41, v40, v1
	v_fma_f16 v0, v41, v0, -v4
	v_pack_b32_f16 v0, v1, v0
	s_waitcnt vmcnt(1)
	v_lshrrev_b32_e32 v1, 16, v2
	s_waitcnt vmcnt(0)
	v_mul_f16_sdwa v4, v3, v1 dst_sel:DWORD dst_unused:UNUSED_PAD src0_sel:WORD_1 src1_sel:DWORD
	v_fma_f16 v4, v3, v2, v4
	v_mul_f16_sdwa v2, v3, v2 dst_sel:DWORD dst_unused:UNUSED_PAD src0_sel:WORD_1 src1_sel:DWORD
	v_fma_f16 v1, v3, v1, -v2
	v_pack_b32_f16 v1, v4, v1
	ds_write2_b32 v19, v0, v1 offset0:150 offset1:160
.LBB0_3:
	s_or_b64 exec, exec, s[14:15]
	s_load_dwordx2 s[2:3], s[4:5], 0x20
	s_load_dwordx2 s[0:1], s[4:5], 0x8
	v_mov_b32_e32 v0, 0
	s_waitcnt lgkmcnt(0)
	s_barrier
	s_waitcnt lgkmcnt(0)
                                        ; implicit-def: $vgpr24
                                        ; implicit-def: $vgpr3
                                        ; implicit-def: $vgpr5
                                        ; implicit-def: $vgpr7
                                        ; implicit-def: $vgpr16
                                        ; implicit-def: $vgpr18
                                        ; implicit-def: $vgpr20
                                        ; implicit-def: $vgpr22
                                        ; implicit-def: $vgpr55
	s_and_saveexec_b64 s[4:5], vcc
	s_cbranch_execz .LBB0_5
; %bb.4:
	v_lshl_add_u32 v9, v23, 2, v26
	ds_read2_b32 v[0:1], v9 offset1:10
	ds_read2_b32 v[21:22], v9 offset0:20 offset1:30
	ds_read2_b32 v[19:20], v9 offset0:40 offset1:50
	;; [unrolled: 1-line block ×7, first 2 shown]
	ds_read_b32 v24, v9 offset:640
	s_waitcnt lgkmcnt(7)
	v_alignbit_b32 v55, v21, v21, 16
.LBB0_5:
	s_or_b64 exec, exec, s[4:5]
	s_waitcnt lgkmcnt(0)
	v_pk_add_f16 v27, v1, v24 neg_lo:[0,1] neg_hi:[0,1]
	s_mov_b32 s4, 0xbbf7
	v_pk_add_f16 v21, v24, v1
	s_movk_i32 s8, 0x2de8
	v_mul_f16_sdwa v42, v27, s4 dst_sel:DWORD dst_unused:UNUSED_PAD src0_sel:WORD_1 src1_sel:DWORD
	s_mov_b32 s10, 0xbbb2
	v_pk_add_f16 v38, v3, v55 op_sel:[1,0] op_sel_hi:[0,1]
	v_pk_add_f16 v39, v55, v3 op_sel:[1,0] op_sel_hi:[0,1] neg_lo:[0,1] neg_hi:[0,1]
	s_mov_b32 s15, 0xb1e1
	v_fma_f16 v9, v21, s8, v42
	s_mov_b32 s9, 0xb461
	v_mul_f16_sdwa v47, v27, s10 dst_sel:DWORD dst_unused:UNUSED_PAD src0_sel:WORD_1 src1_sel:DWORD
	v_lshrrev_b32_e32 v63, 16, v38
	s_mov_b32 s14, 0xbbdd
	v_mul_f16_sdwa v48, v39, s15 dst_sel:DWORD dst_unused:UNUSED_PAD src0_sel:WORD_1 src1_sel:DWORD
	s_movk_i32 s5, 0x3836
	v_add_f16_e32 v9, v9, v0
	v_fma_f16 v10, v21, s9, v47
	s_mov_b32 s11, 0xbacd
	v_fma_f16 v11, v63, s14, v48
	v_mul_f16_sdwa v51, v39, s5 dst_sel:DWORD dst_unused:UNUSED_PAD src0_sel:WORD_1 src1_sel:DWORD
	s_movk_i32 s5, 0x3bb2
	v_pk_add_f16 v41, v22, v2 neg_lo:[0,1] neg_hi:[0,1]
	v_add_f16_e32 v10, v10, v0
	v_add_f16_e32 v9, v11, v9
	v_fma_f16 v11, v63, s11, v51
	v_pk_add_f16 v40, v2, v22
	v_mul_f16_sdwa v52, v41, s5 dst_sel:DWORD dst_unused:UNUSED_PAD src0_sel:WORD_1 src1_sel:DWORD
	s_movk_i32 s17, 0x3964
	v_add_f16_e32 v10, v11, v10
	v_fma_f16 v11, v40, s9, v52
	s_movk_i32 s16, 0x39e9
	v_mul_f16_sdwa v56, v41, s17 dst_sel:DWORD dst_unused:UNUSED_PAD src0_sel:WORD_1 src1_sel:DWORD
	s_movk_i32 s20, 0x35c8
	v_pk_add_f16 v44, v19, v5 neg_lo:[0,1] neg_hi:[0,1]
	v_add_f16_e32 v9, v11, v9
	v_fma_f16 v11, v40, s16, v56
	s_movk_i32 s18, 0x3b76
	v_pk_add_f16 v43, v5, v19
	v_mul_f16_sdwa v57, v44, s20 dst_sel:DWORD dst_unused:UNUSED_PAD src0_sel:WORD_1 src1_sel:DWORD
	s_mov_b32 s26, 0xbb29
	v_add_f16_e32 v10, v11, v10
	v_fma_f16 v11, v43, s18, v57
	s_movk_i32 s19, 0x3722
	v_mul_f16_sdwa v60, v44, s26 dst_sel:DWORD dst_unused:UNUSED_PAD src0_sel:WORD_1 src1_sel:DWORD
	v_pk_add_f16 v46, v20, v4 neg_lo:[0,1] neg_hi:[0,1]
	v_add_f16_e32 v9, v11, v9
	v_fma_f16 v11, v43, s19, v60
	v_pk_add_f16 v45, v4, v20
	v_mul_f16_sdwa v61, v46, s26 dst_sel:DWORD dst_unused:UNUSED_PAD src0_sel:WORD_1 src1_sel:DWORD
	v_add_f16_e32 v10, v11, v10
	v_fma_f16 v11, v45, s19, v61
	v_mul_f16_sdwa v62, v46, s15 dst_sel:DWORD dst_unused:UNUSED_PAD src0_sel:WORD_1 src1_sel:DWORD
	s_mov_b32 s21, 0xb836
	v_pk_add_f16 v50, v17, v7 neg_lo:[0,1] neg_hi:[0,1]
	v_add_f16_e32 v9, v11, v9
	v_fma_f16 v11, v45, s14, v62
	v_pk_add_f16 v49, v7, v17
	v_mul_f16_sdwa v64, v50, s21 dst_sel:DWORD dst_unused:UNUSED_PAD src0_sel:WORD_1 src1_sel:DWORD
	s_movk_i32 s22, 0x3bf7
	v_add_f16_e32 v10, v11, v10
	v_fma_f16 v11, v49, s11, v64
	v_mul_f16_sdwa v65, v50, s22 dst_sel:DWORD dst_unused:UNUSED_PAD src0_sel:WORD_1 src1_sel:DWORD
	s_movk_i32 s28, 0x3a62
	v_pk_add_f16 v54, v18, v6 neg_lo:[0,1] neg_hi:[0,1]
	v_add_f16_e32 v9, v11, v9
	v_fma_f16 v11, v49, s8, v65
	s_mov_b32 s23, 0xb8d2
	v_pk_add_f16 v53, v6, v18
	v_mul_f16_sdwa v66, v54, s28 dst_sel:DWORD dst_unused:UNUSED_PAD src0_sel:WORD_1 src1_sel:DWORD
	s_mov_b32 s27, 0xb5c8
	v_add_f16_e32 v10, v11, v10
	v_fma_f16 v11, v53, s23, v66
	v_mul_f16_sdwa v67, v54, s27 dst_sel:DWORD dst_unused:UNUSED_PAD src0_sel:WORD_1 src1_sel:DWORD
	v_pk_add_f16 v59, v15, v16 neg_lo:[0,1] neg_hi:[0,1]
	v_add_f16_e32 v9, v11, v9
	v_fma_f16 v11, v53, s18, v67
	s_mov_b32 s24, 0xba62
	v_pk_add_f16 v58, v16, v15
	v_mul_f16_sdwa v68, v59, s17 dst_sel:DWORD dst_unused:UNUSED_PAD src0_sel:WORD_1 src1_sel:DWORD
	v_add_f16_e32 v11, v11, v10
	v_fma_f16 v10, v58, s16, v68
	v_mul_f16_sdwa v71, v59, s24 dst_sel:DWORD dst_unused:UNUSED_PAD src0_sel:WORD_1 src1_sel:DWORD
	v_add_f16_e32 v10, v10, v9
	v_fma_f16 v9, v58, s23, v71
	;; [unrolled: 3-line block ×4, first 2 shown]
	v_mul_f16_sdwa v97, v27, s21 dst_sel:DWORD dst_unused:UNUSED_PAD src0_sel:WORD_1 src1_sel:DWORD
	s_movk_i32 s25, 0x3b29
	v_add_f16_e32 v11, v12, v11
	v_fma_f16 v12, v21, s11, v97
	v_mul_f16_sdwa v98, v39, s25 dst_sel:DWORD dst_unused:UNUSED_PAD src0_sel:WORD_1 src1_sel:DWORD
	v_add_f16_e32 v12, v12, v0
	v_fma_f16 v13, v63, s19, v98
	v_mul_f16_sdwa v83, v41, s27 dst_sel:DWORD dst_unused:UNUSED_PAD src0_sel:WORD_1 src1_sel:DWORD
	;; [unrolled: 3-line block ×7, first 2 shown]
	s_mov_b32 s28, 0xb964
	v_add_f16_e32 v11, v13, v11
	v_fma_f16 v13, v45, s18, v102
	v_mul_f16_sdwa v89, v50, s28 dst_sel:DWORD dst_unused:UNUSED_PAD src0_sel:WORD_1 src1_sel:DWORD
	v_add_f16_e32 v12, v13, v12
	v_fma_f16 v13, v49, s16, v89
	v_mul_f16_sdwa v104, v50, s15 dst_sel:DWORD dst_unused:UNUSED_PAD src0_sel:WORD_1 src1_sel:DWORD
	;; [unrolled: 3-line block ×8, first 2 shown]
	v_add_f16_e32 v13, v13, v0
	v_fma_f16 v14, v63, s16, v70
	v_lshrrev_b32_e32 v157, 16, v21
	v_mul_f16_e32 v72, 0xb964, v27
	v_add_f16_e32 v13, v14, v13
	v_fma_f16 v14, v157, s16, -v72
	v_mul_f16_e32 v73, 0xbbf7, v39
	v_add_f16_sdwa v14, v14, v0 dst_sel:DWORD dst_unused:UNUSED_PAD src0_sel:DWORD src1_sel:WORD_1
	v_fma_f16 v29, v38, s8, -v73
	v_mul_f16_sdwa v75, v27, s26 dst_sel:DWORD dst_unused:UNUSED_PAD src0_sel:WORD_1 src1_sel:DWORD
	v_add_f16_e32 v14, v29, v14
	v_fma_f16 v29, v21, s19, v75
	v_mul_f16_sdwa v76, v39, s24 dst_sel:DWORD dst_unused:UNUSED_PAD src0_sel:WORD_1 src1_sel:DWORD
	v_add_f16_e32 v29, v29, v0
	v_fma_f16 v30, v63, s23, v76
	v_mul_f16_e32 v79, 0xbb29, v27
	v_add_f16_e32 v29, v30, v29
	v_fma_f16 v30, v157, s19, -v79
	v_mul_f16_e32 v80, 0xba62, v39
	v_add_f16_sdwa v30, v30, v0 dst_sel:DWORD dst_unused:UNUSED_PAD src0_sel:DWORD src1_sel:WORD_1
	v_fma_f16 v31, v38, s23, -v80
	v_mul_f16_e32 v93, 0xbbf7, v27
	v_add_f16_e32 v30, v31, v30
	v_fma_f16 v31, v157, s8, -v93
	v_mul_f16_e32 v94, 0xb1e1, v39
	v_add_f16_sdwa v31, v31, v0 dst_sel:DWORD dst_unused:UNUSED_PAD src0_sel:DWORD src1_sel:WORD_1
	v_fma_f16 v32, v38, s14, -v94
	v_mul_f16_e32 v111, 0xbbb2, v27
	v_add_f16_e32 v31, v32, v31
	v_fma_f16 v32, v157, s9, -v111
	v_mul_f16_e32 v112, 0x3836, v39
	v_add_f16_sdwa v32, v32, v0 dst_sel:DWORD dst_unused:UNUSED_PAD src0_sel:DWORD src1_sel:WORD_1
	v_fma_f16 v33, v38, s11, -v112
	v_mul_f16_e32 v121, 0xba62, v27
	v_add_f16_e32 v32, v33, v32
	v_fma_f16 v33, v157, s23, -v121
	v_mul_f16_e32 v122, 0x3bb2, v39
	v_add_f16_sdwa v33, v33, v0 dst_sel:DWORD dst_unused:UNUSED_PAD src0_sel:DWORD src1_sel:WORD_1
	v_fma_f16 v34, v38, s9, -v122
	v_mul_f16_e32 v138, 0xb836, v27
	v_add_f16_e32 v33, v34, v33
	v_fma_f16 v34, v157, s11, -v138
	v_mul_f16_e32 v139, 0x3b29, v39
	v_add_f16_sdwa v34, v34, v0 dst_sel:DWORD dst_unused:UNUSED_PAD src0_sel:DWORD src1_sel:WORD_1
	v_fma_f16 v35, v38, s19, -v139
	v_mul_f16_sdwa v74, v41, s26 dst_sel:DWORD dst_unused:UNUSED_PAD src0_sel:WORD_1 src1_sel:DWORD
	v_add_f16_e32 v34, v35, v34
	v_fma_f16 v35, v40, s19, v74
	v_lshrrev_b32_e32 v161, 16, v40
	v_mul_f16_e32 v78, 0xba62, v41
	s_movk_i32 s26, 0x31e1
	v_add_f16_e32 v13, v35, v13
	v_fma_f16 v35, v161, s23, -v78
	v_mul_f16_sdwa v85, v41, s26 dst_sel:DWORD dst_unused:UNUSED_PAD src0_sel:WORD_1 src1_sel:DWORD
	v_add_f16_e32 v14, v35, v14
	v_fma_f16 v35, v40, s14, v85
	v_mul_f16_e32 v91, 0x31e1, v41
	v_add_f16_e32 v29, v35, v29
	v_fma_f16 v35, v161, s14, -v91
	v_mul_f16_e32 v109, 0x3bb2, v41
	v_add_f16_e32 v30, v35, v30
	v_fma_f16 v35, v161, s9, -v109
	v_mul_f16_e32 v119, 0x3964, v41
	v_add_f16_e32 v31, v35, v31
	v_fma_f16 v35, v161, s16, -v119
	v_mul_f16_e32 v134, 0xb5c8, v41
	v_add_f16_e32 v32, v35, v32
	v_fma_f16 v35, v161, s18, -v134
	v_mul_f16_e32 v152, 0xbbf7, v41
	v_add_f16_e32 v33, v35, v33
	v_fma_f16 v35, v161, s8, -v152
	v_mul_f16_sdwa v77, v44, s4 dst_sel:DWORD dst_unused:UNUSED_PAD src0_sel:WORD_1 src1_sel:DWORD
	v_add_f16_e32 v34, v35, v34
	v_fma_f16 v35, v43, s8, v77
	v_lshrrev_b32_e32 v163, 16, v43
	v_mul_f16_e32 v87, 0xb1e1, v44
	v_add_f16_e32 v13, v35, v13
	v_fma_f16 v35, v163, s14, -v87
	v_mul_f16_sdwa v96, v44, s5 dst_sel:DWORD dst_unused:UNUSED_PAD src0_sel:WORD_1 src1_sel:DWORD
	v_add_f16_e32 v14, v35, v14
	v_fma_f16 v35, v43, s9, v96
	v_mul_f16_e32 v103, 0x3bb2, v44
	v_add_f16_e32 v29, v35, v29
	v_fma_f16 v35, v163, s9, -v103
	v_mul_f16_e32 v117, 0x35c8, v44
	v_add_f16_e32 v30, v35, v30
	v_fma_f16 v35, v163, s18, -v117
	v_mul_f16_e32 v127, 0xbb29, v44
	v_add_f16_e32 v31, v35, v31
	v_fma_f16 v35, v163, s19, -v127
	v_mul_f16_e32 v141, 0xb836, v44
	v_add_f16_e32 v32, v35, v32
	v_fma_f16 v35, v163, s11, -v141
	v_mul_f16_e32 v156, 0x3a62, v44
	v_add_f16_e32 v33, v35, v33
	v_fma_f16 v35, v163, s23, -v156
	v_mul_f16_sdwa v84, v46, s10 dst_sel:DWORD dst_unused:UNUSED_PAD src0_sel:WORD_1 src1_sel:DWORD
	v_add_f16_e32 v34, v35, v34
	v_fma_f16 v35, v45, s9, v84
	v_lshrrev_b32_e32 v165, 16, v45
	v_mul_f16_e32 v99, 0x3836, v46
	;; [unrolled: 25-line block ×4, first 2 shown]
	v_add_f16_e32 v13, v35, v13
	v_fma_f16 v35, v169, s19, -v116
	v_mul_f16_sdwa v120, v54, s4 dst_sel:DWORD dst_unused:UNUSED_PAD src0_sel:WORD_1 src1_sel:DWORD
	v_add_f16_e32 v35, v35, v14
	v_fma_f16 v14, v53, s8, v120
	v_mul_f16_e32 v126, 0xbbf7, v54
	v_add_f16_e32 v14, v14, v29
	v_fma_f16 v29, v169, s8, -v126
	v_mul_f16_e32 v140, 0x3a62, v54
	v_add_f16_e32 v29, v29, v30
	v_fma_f16 v30, v169, s23, -v140
	;; [unrolled: 3-line block ×4, first 2 shown]
	v_mul_f16_e32 v167, 0x3964, v54
	s_mov_b32 s4, 0x3b7639e9
	v_add_f16_e32 v37, v30, v33
	v_fma_f16 v30, v169, s16, -v167
	v_mul_f16_sdwa v114, v59, s15 dst_sel:DWORD dst_unused:UNUSED_PAD src0_sel:WORD_1 src1_sel:DWORD
	s_mov_b32 s5, 0xb964b5c8
	s_mov_b32 s27, 0xbbf7b964
	v_pk_mul_f16 v144, v21, s4
	v_add_f16_e32 v143, v30, v34
	v_fma_f16 v30, v58, s14, v114
	s_mov_b32 s26, 0x2de839e9
	s_mov_b32 s28, 0x3722b8d2
	v_pk_fma_f16 v124, v27, s5, v144 op_sel:[0,0,1] op_sel_hi:[1,1,0]
	v_pk_mul_f16 v145, v39, s27
	v_add_f16_e32 v30, v30, v13
	s_mov_b32 s29, 0xba62bb29
	s_mov_b32 s30, 0x2de8bbdd
	v_pk_fma_f16 v125, v38, s26, v145
	v_add_f16_sdwa v13, v124, v0 dst_sel:DWORD dst_unused:UNUSED_PAD src0_sel:WORD_1 src1_sel:DWORD
	v_pk_mul_f16 v146, v40, s28
	s_mov_b32 s31, 0xb1e1bbf7
	s_mov_b32 s33, 0xb461bacd
	v_add_f16_sdwa v13, v125, v13 dst_sel:DWORD dst_unused:UNUSED_PAD src0_sel:WORD_1 src1_sel:DWORD
	v_pk_fma_f16 v128, v41, s29, v146 op_sel:[0,0,1] op_sel_hi:[1,1,0]
	v_pk_mul_f16 v147, v43, s30
	s_mov_b32 s34, 0x3836bbb2
	s_mov_b32 s35, 0xb8d2b461
	v_add_f16_sdwa v13, v128, v13 dst_sel:DWORD dst_unused:UNUSED_PAD src0_sel:WORD_1 src1_sel:DWORD
	v_pk_fma_f16 v129, v44, s31, v147 op_sel:[0,0,1] op_sel_hi:[1,1,0]
	v_pk_mul_f16 v148, v45, s33
	s_mov_b32 s36, 0x3bb2ba62
	s_mov_b32 s37, 0xbacd3722
	v_add_f16_sdwa v13, v129, v13 dst_sel:DWORD dst_unused:UNUSED_PAD src0_sel:WORD_1 src1_sel:DWORD
	v_pk_fma_f16 v130, v46, s34, v148 op_sel:[0,0,1] op_sel_hi:[1,1,0]
	v_pk_mul_f16 v149, v49, s35
	s_mov_b32 s38, 0x3b29b836
	s_mov_b32 s39, 0xbbdd3b76
	v_add_f16_sdwa v13, v130, v13 dst_sel:DWORD dst_unused:UNUSED_PAD src0_sel:WORD_1 src1_sel:DWORD
	v_pk_fma_f16 v131, v50, s36, v149 op_sel:[0,0,1] op_sel_hi:[1,1,0]
	v_pk_mul_f16 v150, v53, s37
	s_mov_b32 s40, 0x35c8b1e1
	v_add_f16_sdwa v13, v131, v13 dst_sel:DWORD dst_unused:UNUSED_PAD src0_sel:WORD_1 src1_sel:DWORD
	v_pk_fma_f16 v132, v54, s38, v150 op_sel:[0,0,1] op_sel_hi:[1,1,0]
	v_mul_f16_sdwa v142, v59, s21 dst_sel:DWORD dst_unused:UNUSED_PAD src0_sel:WORD_1 src1_sel:DWORD
	v_pk_mul_f16 v173, v58, s39
	v_lshrrev_b32_e32 v171, 16, v58
	v_mul_f16_e32 v154, 0xb836, v59
	v_add_f16_sdwa v31, v132, v13 dst_sel:DWORD dst_unused:UNUSED_PAD src0_sel:WORD_1 src1_sel:DWORD
	v_fma_f16 v13, v58, s11, v142
	v_pk_fma_f16 v135, v59, s40, v173 op_sel:[0,0,1] op_sel_hi:[1,1,0]
	v_mul_f16_e32 v137, 0x35c8, v59
	v_fma_f16 v33, v171, s11, -v154
	v_mul_f16_e32 v160, 0x3964, v59
	v_add_f16_e32 v13, v13, v14
	v_add_f16_sdwa v14, v135, v31 dst_sel:DWORD dst_unused:UNUSED_PAD src0_sel:WORD_1 src1_sel:DWORD
	v_fma_f16 v31, v171, s18, -v137
	v_add_f16_e32 v33, v33, v29
	v_fma_f16 v29, v171, s16, -v160
	v_mul_f16_e32 v166, 0xba62, v59
	v_add_f16_e32 v31, v31, v35
	v_add_f16_e32 v35, v29, v36
	v_fma_f16 v29, v171, s23, -v166
	v_mul_f16_e32 v170, 0x3b29, v59
	v_add_f16_e32 v36, v29, v32
	v_fma_f16 v29, v171, s19, -v170
	v_mul_f16_e32 v172, 0xbbb2, v59
	v_add_f16_e32 v34, v29, v37
	v_fma_f16 v29, v171, s9, -v172
	v_add_f16_e32 v32, v29, v143
	v_pk_fma_f16 v143, v27, s5, v144 op_sel:[0,0,1] op_sel_hi:[1,1,0] neg_lo:[1,0,0] neg_hi:[1,0,0]
	v_pk_fma_f16 v144, v38, s26, v145 neg_lo:[0,0,1] neg_hi:[0,0,1]
	v_add_f16_sdwa v29, v143, v0 dst_sel:DWORD dst_unused:UNUSED_PAD src0_sel:DWORD src1_sel:WORD_1
	v_pk_fma_f16 v145, v41, s29, v146 op_sel:[0,0,1] op_sel_hi:[1,1,0] neg_lo:[1,0,0] neg_hi:[1,0,0]
	v_add_f16_e32 v29, v144, v29
	v_pk_fma_f16 v146, v44, s31, v147 op_sel:[0,0,1] op_sel_hi:[1,1,0] neg_lo:[1,0,0] neg_hi:[1,0,0]
	v_add_f16_e32 v29, v145, v29
	v_pk_fma_f16 v147, v46, s34, v148 op_sel:[0,0,1] op_sel_hi:[1,1,0] neg_lo:[1,0,0] neg_hi:[1,0,0]
	v_add_f16_e32 v29, v146, v29
	v_pk_fma_f16 v148, v50, s36, v149 op_sel:[0,0,1] op_sel_hi:[1,1,0] neg_lo:[1,0,0] neg_hi:[1,0,0]
	v_add_f16_e32 v29, v147, v29
	v_pk_fma_f16 v149, v54, s38, v150 op_sel:[0,0,1] op_sel_hi:[1,1,0] neg_lo:[1,0,0] neg_hi:[1,0,0]
	v_add_f16_e32 v29, v148, v29
	v_pk_fma_f16 v150, v59, s40, v173 op_sel:[0,0,1] op_sel_hi:[1,1,0] neg_lo:[1,0,0] neg_hi:[1,0,0]
	v_add_f16_e32 v29, v149, v29
	v_add_f16_e32 v37, v150, v29
	v_mul_lo_u16_e32 v29, 17, v25
	s_barrier
	s_and_saveexec_b64 s[4:5], vcc
	s_cbranch_execz .LBB0_7
; %bb.6:
	v_mul_f16_e32 v178, 0x2de8, v21
	v_mul_f16_e32 v180, 0xb461, v21
	;; [unrolled: 1-line block ×3, first 2 shown]
	v_sub_f16_e32 v42, v178, v42
	v_mul_f16_e32 v191, 0xbacd, v63
	v_mul_f16_e32 v200, 0xb461, v40
	v_sub_f16_e32 v47, v180, v47
	v_add_f16_e32 v42, v42, v0
	v_sub_f16_e32 v48, v189, v48
	v_mul_f16_e32 v202, 0x39e9, v40
	v_mul_f16_e32 v211, 0x3b76, v43
	v_add_f16_e32 v47, v47, v0
	v_sub_f16_e32 v51, v191, v51
	v_add_f16_e32 v42, v48, v42
	v_sub_f16_e32 v48, v200, v52
	v_mul_f16_e32 v213, 0x3722, v43
	v_mul_f16_e32 v222, 0x3722, v45
	v_add_f16_e32 v47, v51, v47
	v_sub_f16_e32 v51, v202, v56
	v_add_f16_e32 v42, v48, v42
	v_sub_f16_e32 v48, v211, v57
	v_mul_f16_e32 v175, 0x39e9, v157
	v_mul_f16_e32 v177, 0x3722, v157
	;; [unrolled: 1-line block ×8, first 2 shown]
	v_add_f16_e32 v47, v51, v47
	v_sub_f16_e32 v51, v213, v60
	v_add_f16_e32 v42, v48, v42
	v_sub_f16_e32 v48, v222, v61
	v_mul_f16_e32 v195, 0x3722, v38
	v_mul_f16_e32 v235, 0x2de8, v49
	v_mul_f16_e32 v244, 0xb8d2, v53
	v_add_f16_e32 v138, v138, v157
	v_add_f16_e32 v47, v51, v47
	v_sub_f16_e32 v51, v224, v62
	v_add_f16_e32 v42, v48, v42
	v_sub_f16_e32 v48, v233, v64
	v_mul_f16_e32 v246, 0x3b76, v53
	v_mul_f16_e32 v157, 0x39e9, v58
	v_add_f16_e32 v139, v139, v195
	v_add_f16_sdwa v138, v138, v0 dst_sel:DWORD dst_unused:UNUSED_PAD src0_sel:DWORD src1_sel:WORD_1
	v_add_f16_e32 v47, v51, v47
	v_sub_f16_e32 v51, v235, v65
	v_add_f16_e32 v42, v48, v42
	v_sub_f16_e32 v48, v244, v66
	v_add_f16_e32 v138, v139, v138
	v_mul_f16_e32 v139, 0xb8d2, v58
	v_add_f16_e32 v47, v51, v47
	v_sub_f16_e32 v51, v246, v67
	v_add_f16_e32 v42, v48, v42
	v_sub_f16_e32 v48, v157, v68
	v_mul_f16_e32 v188, 0xb8d2, v38
	v_add_f16_e32 v47, v51, v47
	v_sub_f16_e32 v51, v139, v71
	v_add_f16_e32 v42, v48, v42
	v_add_f16_e32 v48, v79, v177
	v_mul_f16_e32 v190, 0xbbdd, v38
	v_mul_f16_e32 v199, 0xbbdd, v161
	v_add_f16_e32 v47, v51, v47
	v_add_f16_e32 v51, v93, v179
	v_add_f16_sdwa v48, v48, v0 dst_sel:DWORD dst_unused:UNUSED_PAD src0_sel:DWORD src1_sel:WORD_1
	v_add_f16_e32 v52, v80, v188
	v_mul_f16_e32 v201, 0xb461, v161
	v_mul_f16_e32 v210, 0xb461, v163
	v_add_f16_sdwa v51, v51, v0 dst_sel:DWORD dst_unused:UNUSED_PAD src0_sel:DWORD src1_sel:WORD_1
	v_add_f16_e32 v56, v94, v190
	v_add_f16_e32 v48, v52, v48
	v_add_f16_e32 v52, v91, v199
	v_mul_f16_e32 v212, 0x3b76, v163
	v_mul_f16_e32 v221, 0x39e9, v165
	v_add_f16_e32 v51, v56, v51
	v_add_f16_e32 v56, v109, v201
	v_add_f16_e32 v48, v52, v48
	v_add_f16_e32 v52, v103, v210
	v_mul_f16_e32 v223, 0x3722, v165
	v_mul_f16_e32 v232, 0x3b76, v168
	v_add_f16_e32 v51, v56, v51
	;; [unrolled: 6-line block ×5, first 2 shown]
	v_add_f16_e32 v56, v140, v245
	v_add_f16_e32 v48, v52, v48
	;; [unrolled: 1-line block ×3, first 2 shown]
	v_alignbit_b32 v173, v0, v0, 16
	v_mul_f16_e32 v187, 0xb8d2, v63
	v_add_f16_e32 v51, v56, v51
	v_add_f16_e32 v56, v160, v195
	;; [unrolled: 1-line block ×3, first 2 shown]
	v_sub_f16_e32 v52, v176, v75
	v_alignbit_b32 v55, v55, v55, 16
	v_mul_f16_e32 v198, 0xbbdd, v40
	v_add_f16_e32 v51, v56, v51
	v_add_f16_e32 v52, v52, v0
	v_sub_f16_e32 v56, v187, v76
	v_pk_add_f16 v1, v1, v173 op_sel:[0,1] op_sel_hi:[1,0]
	v_mul_f16_e32 v209, 0xb461, v43
	v_add_f16_e32 v52, v56, v52
	v_sub_f16_e32 v56, v198, v85
	v_pk_add_f16 v1, v55, v1
	v_mul_f16_e32 v220, 0x39e9, v45
	v_add_f16_e32 v52, v56, v52
	v_sub_f16_e32 v56, v209, v96
	v_pk_add_f16 v1, v22, v1
	v_mul_f16_e32 v231, 0x3b76, v49
	v_add_f16_e32 v52, v56, v52
	v_sub_f16_e32 v56, v220, v106
	v_pk_add_f16 v1, v19, v1
	v_mul_f16_e32 v242, 0x2de8, v53
	v_add_f16_e32 v52, v56, v52
	v_sub_f16_e32 v56, v231, v115
	v_pk_add_f16 v1, v20, v1
	v_mul_f16_e32 v253, 0xbacd, v58
	v_add_f16_e32 v52, v56, v52
	v_sub_f16_e32 v56, v242, v120
	v_pk_add_f16 v1, v17, v1
	v_mul_f16_e32 v182, 0xb8d2, v21
	v_mul_f16_e32 v184, 0xbacd, v21
	v_add_f16_e32 v52, v56, v52
	v_sub_f16_e32 v56, v253, v142
	v_pk_add_f16 v1, v18, v1
	v_mul_f16_e32 v185, 0x39e9, v63
	v_mul_f16_e32 v186, 0x2de8, v38
	;; [unrolled: 1-line block ×4, first 2 shown]
	v_sub_f16_e32 v97, v184, v97
	v_sub_f16_e32 v81, v182, v81
	v_add_f16_e32 v52, v56, v52
	v_add_f16_e32 v56, v72, v175
	v_pk_add_f16 v1, v15, v1
	v_mul_f16_e32 v197, 0xb8d2, v161
	v_mul_f16_e32 v204, 0x3b76, v40
	;; [unrolled: 1-line block ×3, first 2 shown]
	v_add_f16_e32 v97, v97, v0
	v_sub_f16_e32 v63, v63, v98
	v_add_f16_e32 v81, v81, v0
	v_sub_f16_e32 v82, v193, v82
	v_add_f16_sdwa v56, v56, v0 dst_sel:DWORD dst_unused:UNUSED_PAD src0_sel:DWORD src1_sel:WORD_1
	v_add_f16_e32 v57, v73, v186
	v_pk_add_f16 v1, v16, v1
	v_mul_f16_e32 v208, 0xbbdd, v163
	v_mul_f16_e32 v215, 0xbacd, v43
	;; [unrolled: 1-line block ×3, first 2 shown]
	v_add_f16_e32 v63, v63, v97
	v_sub_f16_e32 v97, v206, v100
	v_add_f16_e32 v81, v82, v81
	v_sub_f16_e32 v82, v204, v83
	v_add_f16_e32 v56, v57, v56
	v_add_f16_e32 v57, v78, v197
	v_pk_add_f16 v1, v6, v1
	v_mul_f16_e32 v203, 0x39e9, v161
	v_mul_f16_e32 v205, 0x3b76, v161
	;; [unrolled: 1-line block ×6, first 2 shown]
	v_add_f16_e32 v63, v97, v63
	v_sub_f16_e32 v97, v217, v101
	v_add_f16_e32 v81, v82, v81
	v_sub_f16_e32 v82, v215, v86
	v_add_f16_e32 v56, v57, v56
	v_add_f16_e32 v57, v87, v208
	v_pk_add_f16 v1, v7, v1
	v_mul_f16_e32 v214, 0x3722, v163
	v_mul_f16_e32 v216, 0xbacd, v163
	;; [unrolled: 1-line block ×6, first 2 shown]
	v_add_f16_e32 v152, v152, v161
	v_add_f16_e32 v63, v97, v63
	v_sub_f16_e32 v97, v228, v102
	v_add_f16_e32 v81, v82, v81
	v_sub_f16_e32 v82, v226, v88
	v_add_f16_e32 v56, v57, v56
	v_add_f16_e32 v57, v99, v219
	v_pk_add_f16 v1, v4, v1
	v_mul_f16_e32 v241, 0x3722, v169
	v_mul_f16_e32 v248, 0xbbdd, v53
	;; [unrolled: 1-line block ×3, first 2 shown]
	v_add_f16_e32 v138, v152, v138
	v_add_f16_e32 v156, v156, v163
	;; [unrolled: 1-line block ×3, first 2 shown]
	v_sub_f16_e32 v97, v239, v104
	v_add_f16_e32 v81, v82, v81
	v_sub_f16_e32 v82, v237, v89
	v_add_f16_e32 v56, v57, v56
	v_add_f16_e32 v57, v108, v230
	v_pk_add_f16 v1, v5, v1
	v_mul_f16_e32 v252, 0x3b76, v171
	v_mul_f16_e32 v152, 0x3722, v58
	v_add_f16_e32 v138, v156, v138
	v_mul_f16_e32 v156, 0xb461, v58
	v_add_f16_e32 v63, v97, v63
	v_sub_f16_e32 v97, v250, v107
	v_add_f16_e32 v81, v82, v81
	v_sub_f16_e32 v82, v248, v90
	v_add_f16_e32 v56, v57, v56
	v_add_f16_e32 v57, v116, v241
	v_pk_add_f16 v1, v2, v1
	v_mul_f16_e32 v174, 0x3b76, v21
	v_add_f16_e32 v63, v97, v63
	v_sub_f16_e32 v97, v156, v110
	v_add_f16_e32 v81, v82, v81
	v_sub_f16_e32 v82, v152, v92
	v_add_f16_e32 v56, v57, v56
	v_add_f16_e32 v57, v137, v252
	s_mov_b32 s26, 0xffff
	v_pk_add_f16 v1, v3, v1
	v_add_f16_e32 v63, v97, v63
	v_add_f16_e32 v97, v121, v183
	;; [unrolled: 1-line block ×5, first 2 shown]
	v_bfi_b32 v57, s26, v124, v143
	v_sub_f16_e32 v68, v174, v69
	v_add_lshl_u32 v19, v23, v29, 2
	v_pk_add_f16 v1, v24, v1
	v_mul_f16_e32 v196, 0x3722, v40
	v_add_f16_sdwa v97, v97, v0 dst_sel:DWORD dst_unused:UNUSED_PAD src0_sel:DWORD src1_sel:WORD_1
	v_add_f16_sdwa v82, v82, v0 dst_sel:DWORD dst_unused:UNUSED_PAD src0_sel:DWORD src1_sel:WORD_1
	v_bfi_b32 v60, s26, v125, v144
	v_add_f16_e32 v0, v68, v0
	v_sub_f16_e32 v68, v185, v70
	ds_write_b32 v19, v1
	v_pk_add_f16 v1, v57, v173
	v_mul_f16_e32 v192, 0xbacd, v38
	v_mul_f16_e32 v194, 0xb461, v38
	;; [unrolled: 1-line block ×3, first 2 shown]
	v_bfi_b32 v61, s26, v128, v145
	v_add_f16_e32 v0, v68, v0
	v_sub_f16_e32 v68, v196, v74
	v_pk_add_f16 v1, v60, v1
	v_mul_f16_e32 v218, 0xb461, v45
	v_add_f16_e32 v98, v122, v194
	v_add_f16_e32 v83, v112, v192
	v_bfi_b32 v62, s26, v129, v146
	v_add_f16_e32 v0, v68, v0
	v_sub_f16_e32 v68, v207, v77
	v_pk_add_f16 v1, v61, v1
	v_mul_f16_e32 v229, 0xb8d2, v49
	v_add_f16_e32 v97, v98, v97
	v_add_f16_e32 v98, v134, v205
	v_add_f16_e32 v82, v83, v82
	v_add_f16_e32 v83, v119, v203
	v_bfi_b32 v64, s26, v130, v147
	v_add_f16_e32 v0, v68, v0
	v_sub_f16_e32 v68, v218, v84
	v_pk_add_f16 v1, v62, v1
	v_mul_f16_e32 v225, 0xbbdd, v165
	v_mul_f16_e32 v227, 0x2de8, v165
	v_mul_f16_e32 v240, 0xbacd, v53
	v_add_f16_e32 v97, v98, v97
	v_add_f16_e32 v98, v141, v216
	v_add_f16_e32 v82, v83, v82
	v_add_f16_e32 v83, v127, v214
	v_bfi_b32 v65, s26, v131, v148
	v_add_f16_e32 v0, v68, v0
	v_sub_f16_e32 v68, v229, v95
	v_pk_add_f16 v1, v64, v1
	v_mul_f16_e32 v236, 0x2de8, v168
	v_mul_f16_e32 v238, 0x39e9, v168
	v_mul_f16_e32 v251, 0xbbdd, v58
	v_add_f16_e32 v97, v98, v97
	v_add_f16_e32 v98, v153, v227
	v_add_f16_e32 v82, v83, v82
	v_add_f16_e32 v83, v136, v225
	v_bfi_b32 v66, s26, v132, v149
	v_add_f16_e32 v0, v68, v0
	v_sub_f16_e32 v68, v240, v105
	v_pk_add_f16 v1, v65, v1
	v_mul_f16_e32 v247, 0x3b76, v169
	v_mul_f16_e32 v249, 0xbbdd, v169
	v_add_f16_e32 v97, v98, v97
	v_add_f16_e32 v98, v158, v238
	v_add_f16_e32 v82, v83, v82
	v_add_f16_e32 v83, v151, v236
	v_bfi_b32 v67, s26, v135, v150
	v_add_f16_e32 v0, v68, v0
	v_sub_f16_e32 v68, v251, v114
	v_pk_add_f16 v1, v66, v1
	v_mul_f16_e32 v161, 0xb8d2, v171
	v_mul_f16_e32 v163, 0x3722, v171
	v_add_f16_e32 v97, v98, v97
	v_add_f16_e32 v98, v162, v249
	v_add_f16_e32 v82, v83, v82
	v_add_f16_e32 v83, v155, v247
	v_add_f16_e32 v0, v68, v0
	v_pk_add_f16 v1, v67, v1
	v_add_f16_e32 v97, v98, v97
	v_add_f16_e32 v98, v170, v163
	;; [unrolled: 1-line block ×4, first 2 shown]
	v_alignbit_b32 v2, v56, v1, 16
	v_pack_b32_f16 v0, v0, v1
	v_add_f16_e32 v97, v98, v97
	v_add_f16_e32 v82, v83, v82
	ds_write2_b32 v19, v0, v2 offset0:1 offset1:2
	v_pack_b32_f16 v0, v42, v51
	v_pack_b32_f16 v1, v52, v48
	ds_write2_b32 v19, v1, v0 offset0:3 offset1:4
	v_pack_b32_f16 v0, v81, v97
	v_pack_b32_f16 v1, v47, v82
	ds_write2_b32 v19, v1, v0 offset0:5 offset1:6
	v_pk_mul_f16 v0, v27, s15 op_sel_hi:[1,0]
	v_pk_fma_f16 v1, v21, s14, v0 op_sel:[0,0,1] op_sel_hi:[1,0,0] neg_lo:[0,0,1] neg_hi:[0,0,1]
	v_pk_fma_f16 v0, v21, s14, v0 op_sel:[0,0,1] op_sel_hi:[1,0,0]
	v_pk_mul_f16 v3, v39, s20 op_sel_hi:[1,0]
	v_bfi_b32 v2, s26, v1, v0
	v_pk_fma_f16 v4, v38, s18, v3 op_sel_hi:[1,0,1] neg_lo:[0,0,1] neg_hi:[0,0,1]
	v_pk_fma_f16 v3, v38, s18, v3 op_sel_hi:[1,0,1]
	v_pk_add_f16 v2, v2, v173 op_sel:[0,1] op_sel_hi:[1,0]
	v_alignbit_b32 v5, v3, v4, 16
	v_pk_add_f16 v2, v5, v2
	v_pk_mul_f16 v5, v41, s21 op_sel_hi:[1,0]
	v_pk_fma_f16 v6, v40, s11, v5 op_sel:[0,0,1] op_sel_hi:[1,0,0] neg_lo:[0,0,1] neg_hi:[0,0,1]
	v_pk_fma_f16 v5, v40, s11, v5 op_sel:[0,0,1] op_sel_hi:[1,0,0]
	v_bfi_b32 v7, s26, v6, v5
	v_pk_add_f16 v2, v7, v2
	v_pk_mul_f16 v7, v44, s17 op_sel_hi:[1,0]
	v_pk_fma_f16 v15, v43, s16, v7 op_sel:[0,0,1] op_sel_hi:[1,0,0] neg_lo:[0,0,1] neg_hi:[0,0,1]
	v_pk_fma_f16 v7, v43, s16, v7 op_sel:[0,0,1] op_sel_hi:[1,0,0]
	v_bfi_b32 v16, s26, v15, v7
	;; [unrolled: 5-line block ×4, first 2 shown]
	v_bfi_b32 v21, s26, v20, v18
	v_pk_add_f16 v0, v0, v173 op_sel:[0,1] op_sel_hi:[1,0]
	v_alignbit_b32 v1, v4, v3, 16
	v_pk_add_f16 v2, v21, v2
	v_pk_mul_f16 v21, v54, s10 op_sel_hi:[1,0]
	v_pk_add_f16 v0, v1, v0
	v_bfi_b32 v1, s26, v5, v6
	v_pk_fma_f16 v22, v53, s9, v21 op_sel:[0,0,1] op_sel_hi:[1,0,0] neg_lo:[0,0,1] neg_hi:[0,0,1]
	v_pk_fma_f16 v21, v53, s9, v21 op_sel:[0,0,1] op_sel_hi:[1,0,0]
	v_pk_add_f16 v0, v1, v0
	v_bfi_b32 v1, s26, v7, v15
	v_bfi_b32 v24, s26, v22, v21
	v_pk_add_f16 v0, v1, v0
	v_bfi_b32 v1, s26, v16, v17
	v_mul_f16_e32 v165, 0x3b76, v165
	v_pk_add_f16 v2, v24, v2
	v_pk_mul_f16 v24, v59, s22 op_sel_hi:[1,0]
	v_pk_add_f16 v0, v1, v0
	v_bfi_b32 v1, s26, v18, v20
	v_mul_f16_e32 v168, 0xbbdd, v168
	v_add_f16_e32 v159, v159, v165
	v_pk_fma_f16 v27, v58, s8, v24 op_sel:[0,0,1] op_sel_hi:[1,0,0] neg_lo:[0,0,1] neg_hi:[0,0,1]
	v_pk_fma_f16 v24, v58, s8, v24 op_sel:[0,0,1] op_sel_hi:[1,0,0]
	v_pk_add_f16 v0, v1, v0
	v_bfi_b32 v1, s26, v21, v22
	v_mul_f16_e32 v169, 0x39e9, v169
	v_add_f16_e32 v138, v159, v138
	v_add_f16_e32 v159, v164, v168
	v_pk_add_f16 v0, v1, v0
	v_bfi_b32 v1, s26, v24, v27
	s_mov_b32 s8, 0x5040100
	v_mul_f16_e32 v171, 0xb461, v171
	v_add_f16_e32 v138, v159, v138
	v_add_f16_e32 v159, v167, v169
	v_pk_add_f16 v0, v1, v0
	v_perm_b32 v1, v32, v11, s8
	v_add_f16_e32 v138, v159, v138
	v_add_f16_e32 v159, v172, v171
	ds_write2_b32 v19, v0, v1 offset0:9 offset1:10
	v_perm_b32 v0, v36, v9, s8
	v_perm_b32 v1, v34, v12, s8
	v_add_f16_e32 v138, v159, v138
	v_bfi_b32 v38, s26, v27, v24
	ds_write2_b32 v19, v1, v0 offset0:11 offset1:12
	v_perm_b32 v0, v33, v13, s8
	v_perm_b32 v1, v35, v10, s8
	v_pk_add_f16 v2, v38, v2
	v_pack_b32_f16 v38, v63, v138
	ds_write2_b32 v19, v1, v0 offset0:13 offset1:14
	v_perm_b32 v0, v37, v30, s8
	v_perm_b32 v1, v31, v14, s8
	ds_write2_b32 v19, v38, v2 offset0:7 offset1:8
	ds_write2_b32 v19, v1, v0 offset0:15 offset1:16
.LBB0_7:
	s_or_b64 exec, exec, s[4:5]
	v_mad_u64_u32 v[15:16], s[0:1], v25, 36, s[0:1]
	s_load_dwordx4 s[8:11], s[2:3], 0x0
	s_waitcnt lgkmcnt(0)
	s_barrier
	global_load_dwordx4 v[0:3], v[15:16], off
	global_load_dwordx4 v[4:7], v[15:16], off offset:16
	global_load_dword v38, v[15:16], off offset:32
	v_add_lshl_u32 v39, v23, v25, 2
	ds_read2_b32 v[15:16], v39 offset1:17
	ds_read2_b32 v[17:18], v39 offset0:34 offset1:51
	ds_read2_b32 v[19:20], v39 offset0:68 offset1:85
	;; [unrolled: 1-line block ×4, first 2 shown]
	s_waitcnt lgkmcnt(4)
	v_lshrrev_b32_e32 v40, 16, v16
	s_waitcnt lgkmcnt(3)
	v_lshrrev_b32_e32 v41, 16, v17
	;; [unrolled: 2-line block ×5, first 2 shown]
	v_lshrrev_b32_e32 v42, 16, v18
	v_lshrrev_b32_e32 v44, 16, v20
	s_movk_i32 s0, 0x3b9c
	s_mov_b32 s3, 0xbb9c
	v_lshrrev_b32_e32 v27, 16, v15
	s_mov_b32 s4, 0xb8b4
	s_movk_i32 s1, 0x38b4
	s_movk_i32 s2, 0x34f2
	v_lshrrev_b32_e32 v46, 16, v22
	v_lshrrev_b32_e32 v48, 16, v24
	s_movk_i32 s5, 0x3a79
	s_waitcnt vmcnt(2)
	v_mul_f16_sdwa v51, v41, v1 dst_sel:DWORD dst_unused:UNUSED_PAD src0_sel:DWORD src1_sel:WORD_1
	v_mul_f16_sdwa v55, v43, v3 dst_sel:DWORD dst_unused:UNUSED_PAD src0_sel:DWORD src1_sel:WORD_1
	s_waitcnt vmcnt(1)
	v_mul_f16_sdwa v59, v45, v5 dst_sel:DWORD dst_unused:UNUSED_PAD src0_sel:DWORD src1_sel:WORD_1
	v_mul_f16_sdwa v63, v47, v7 dst_sel:DWORD dst_unused:UNUSED_PAD src0_sel:DWORD src1_sel:WORD_1
	;; [unrolled: 1-line block ×7, first 2 shown]
	v_fma_f16 v17, v17, v1, -v51
	v_fma_f16 v19, v19, v3, -v55
	;; [unrolled: 1-line block ×4, first 2 shown]
	v_mul_f16_sdwa v49, v40, v0 dst_sel:DWORD dst_unused:UNUSED_PAD src0_sel:DWORD src1_sel:WORD_1
	v_mul_f16_sdwa v53, v42, v2 dst_sel:DWORD dst_unused:UNUSED_PAD src0_sel:DWORD src1_sel:WORD_1
	;; [unrolled: 1-line block ×4, first 2 shown]
	v_fma_f16 v40, v40, v0, v50
	v_fma_f16 v43, v43, v3, v56
	;; [unrolled: 1-line block ×3, first 2 shown]
	v_add_f16_e32 v50, v19, v21
	v_add_f16_e32 v55, v17, v23
	v_mul_f16_sdwa v58, v20, v4 dst_sel:DWORD dst_unused:UNUSED_PAD src0_sel:DWORD src1_sel:WORD_1
	v_fma_f16 v16, v16, v0, -v49
	v_fma_f16 v41, v41, v1, v52
	v_fma_f16 v18, v18, v2, -v53
	v_fma_f16 v42, v42, v2, v54
	;; [unrolled: 2-line block ×3, first 2 shown]
	v_add_f16_e32 v49, v15, v17
	v_sub_f16_e32 v52, v43, v45
	v_sub_f16_e32 v53, v17, v19
	;; [unrolled: 1-line block ×5, first 2 shown]
	v_fma_f16 v50, v50, -0.5, v15
	v_fma_f16 v15, v55, -0.5, v15
	v_sub_f16_e32 v51, v41, v47
	v_add_f16_e32 v53, v53, v54
	v_add_f16_e32 v54, v56, v57
	v_fma_f16 v56, v52, s3, v15
	v_fma_f16 v15, v52, s0, v15
	;; [unrolled: 1-line block ×7, first 2 shown]
	v_add_f16_e32 v15, v27, v41
	v_add_f16_e32 v15, v15, v43
	;; [unrolled: 1-line block ×4, first 2 shown]
	v_fma_f16 v55, v52, s1, v55
	v_fma_f16 v50, v52, s4, v50
	v_add_f16_e32 v52, v15, v47
	v_add_f16_e32 v15, v43, v45
	v_add_f16_e32 v49, v49, v21
	v_fma_f16 v15, v15, -0.5, v27
	v_sub_f16_e32 v17, v17, v23
	v_add_f16_e32 v49, v49, v23
	v_fma_f16 v23, v17, s3, v15
	v_sub_f16_e32 v19, v19, v21
	v_fma_f16 v55, v53, s2, v55
	v_fma_f16 v50, v53, s2, v50
	;; [unrolled: 1-line block ×4, first 2 shown]
	v_sub_f16_e32 v23, v41, v43
	v_sub_f16_e32 v54, v47, v45
	v_fma_f16 v15, v17, s0, v15
	v_add_f16_e32 v23, v23, v54
	v_fma_f16 v15, v19, s1, v15
	v_fma_f16 v56, v23, s2, v15
	v_add_f16_e32 v15, v41, v47
	v_fma_f16 v15, v15, -0.5, v27
	v_fma_f16 v54, v23, s2, v21
	v_fma_f16 v21, v19, s0, v15
	v_sub_f16_e32 v23, v43, v41
	v_sub_f16_e32 v27, v45, v47
	v_fma_f16 v15, v19, s3, v15
	v_add_f16_e32 v23, v23, v27
	v_fma_f16 v15, v17, s1, v15
	v_mul_f16_sdwa v61, v46, v6 dst_sel:DWORD dst_unused:UNUSED_PAD src0_sel:DWORD src1_sel:WORD_1
	v_fma_f16 v57, v23, s2, v15
	v_add_f16_e32 v15, v16, v18
	v_mul_f16_sdwa v62, v22, v6 dst_sel:DWORD dst_unused:UNUSED_PAD src0_sel:DWORD src1_sel:WORD_1
	s_waitcnt vmcnt(0)
	v_mul_f16_sdwa v65, v48, v38 dst_sel:DWORD dst_unused:UNUSED_PAD src0_sel:DWORD src1_sel:WORD_1
	v_fma_f16 v22, v22, v6, -v61
	v_add_f16_e32 v15, v15, v20
	v_mul_f16_sdwa v66, v24, v38 dst_sel:DWORD dst_unused:UNUSED_PAD src0_sel:DWORD src1_sel:WORD_1
	v_fma_f16 v24, v24, v38, -v65
	v_fma_f16 v21, v17, s4, v21
	v_add_f16_e32 v15, v15, v22
	v_fma_f16 v48, v48, v38, v66
	v_fma_f16 v27, v23, s2, v21
	v_add_f16_e32 v21, v15, v24
	v_add_f16_e32 v15, v20, v22
	v_fma_f16 v44, v44, v4, v58
	v_fma_f16 v46, v46, v6, v62
	v_fma_f16 v15, v15, -0.5, v16
	v_sub_f16_e32 v17, v42, v48
	v_fma_f16 v19, v17, s0, v15
	v_sub_f16_e32 v23, v44, v46
	v_sub_f16_e32 v41, v18, v20
	;; [unrolled: 1-line block ×3, first 2 shown]
	v_fma_f16 v15, v17, s3, v15
	v_add_f16_e32 v41, v41, v43
	v_fma_f16 v15, v23, s4, v15
	v_fma_f16 v45, v41, s2, v15
	v_add_f16_e32 v15, v18, v24
	v_fma_f16 v19, v23, s1, v19
	v_fma_f16 v15, v15, -0.5, v16
	v_fma_f16 v43, v41, s2, v19
	v_fma_f16 v16, v23, s3, v15
	v_sub_f16_e32 v19, v20, v18
	v_sub_f16_e32 v41, v22, v24
	v_fma_f16 v15, v23, s0, v15
	v_add_f16_e32 v19, v19, v41
	v_fma_f16 v15, v17, s4, v15
	v_fma_f16 v23, v19, s2, v15
	v_add_f16_e32 v15, v40, v42
	v_add_f16_e32 v15, v15, v44
	;; [unrolled: 1-line block ×3, first 2 shown]
	v_fma_f16 v16, v17, s1, v16
	v_add_f16_e32 v58, v15, v48
	v_add_f16_e32 v15, v44, v46
	v_fma_f16 v47, v19, s2, v16
	v_fma_f16 v15, v15, -0.5, v40
	v_sub_f16_e32 v16, v18, v24
	v_fma_f16 v17, v16, s3, v15
	v_sub_f16_e32 v18, v20, v22
	v_sub_f16_e32 v19, v42, v44
	;; [unrolled: 1-line block ×3, first 2 shown]
	v_fma_f16 v15, v16, s0, v15
	v_add_f16_e32 v19, v19, v20
	v_fma_f16 v15, v18, s1, v15
	v_fma_f16 v22, v19, s2, v15
	v_add_f16_e32 v15, v42, v48
	v_fma_f16 v17, v18, s4, v17
	v_fma_f16 v15, v15, -0.5, v40
	v_fma_f16 v20, v19, s2, v17
	v_fma_f16 v17, v18, s0, v15
	v_sub_f16_e32 v19, v44, v42
	v_sub_f16_e32 v24, v46, v48
	v_fma_f16 v17, v16, s4, v17
	v_add_f16_e32 v19, v19, v24
	v_fma_f16 v15, v18, s3, v15
	v_fma_f16 v24, v19, s2, v17
	v_fma_f16 v15, v16, s1, v15
	v_mul_f16_e32 v41, 0xb8b4, v43
	v_fma_f16 v44, v19, s2, v15
	v_mul_f16_e32 v16, 0x38b4, v20
	v_mul_f16_e32 v17, 0x3b9c, v24
	v_fma_f16 v61, v20, s5, v41
	v_mul_f16_e32 v20, 0xbb9c, v47
	v_fma_f16 v46, v43, s5, v16
	v_fma_f16 v48, v47, s2, v17
	v_mul_f16_e32 v18, 0x34f2, v23
	v_mul_f16_e32 v19, 0x3a79, v45
	v_fma_f16 v47, v24, s2, v20
	v_mul_f16_e32 v20, 0x34f2, v44
	v_add_f16_e32 v15, v49, v21
	v_add_f16_e32 v16, v55, v46
	v_fma_f16 v59, v44, s0, -v18
	v_fma_f16 v60, v22, s1, -v19
	v_add_f16_e32 v40, v52, v58
	v_add_f16_e32 v41, v54, v61
	v_fma_f16 v62, v23, s3, -v20
	v_mul_f16_e32 v20, 0x3a79, v22
	v_add_f16_e32 v17, v53, v48
	v_add_f16_e32 v18, v51, v59
	;; [unrolled: 1-line block ×5, first 2 shown]
	v_fma_f16 v63, v45, s4, -v20
	v_sub_f16_e32 v23, v51, v59
	v_sub_f16_e32 v24, v50, v60
	;; [unrolled: 1-line block ×3, first 2 shown]
	v_lshl_add_u32 v27, v25, 2, v28
	v_pack_b32_f16 v50, v15, v40
	v_pack_b32_f16 v51, v16, v41
	v_add_f16_e32 v44, v56, v63
	v_sub_f16_e32 v20, v49, v21
	v_sub_f16_e32 v45, v52, v58
	ds_write2_b32 v27, v50, v51 offset1:17
	v_pack_b32_f16 v50, v17, v42
	v_pack_b32_f16 v51, v18, v43
	v_sub_f16_e32 v21, v55, v46
	v_sub_f16_e32 v22, v53, v48
	;; [unrolled: 1-line block ×3, first 2 shown]
	ds_write2_b32 v27, v50, v51 offset0:34 offset1:51
	v_pack_b32_f16 v50, v19, v44
	v_pack_b32_f16 v51, v20, v45
	v_sub_f16_e32 v48, v57, v62
	v_sub_f16_e32 v49, v56, v63
	ds_write2_b32 v27, v50, v51 offset0:68 offset1:85
	v_pack_b32_f16 v50, v21, v46
	v_pack_b32_f16 v51, v22, v47
	ds_write2_b32 v27, v50, v51 offset0:102 offset1:119
	v_pack_b32_f16 v50, v23, v48
	v_pack_b32_f16 v51, v24, v49
	ds_write2_b32 v27, v50, v51 offset0:136 offset1:153
	s_waitcnt lgkmcnt(0)
	s_barrier
	s_and_saveexec_b64 s[0:1], vcc
	s_cbranch_execz .LBB0_9
; %bb.8:
	global_load_dword v62, v26, s[6:7] offset:680
	s_add_u32 s2, s6, 0x2a8
	s_addc_u32 s3, s7, 0
	global_load_dword v63, v26, s[2:3] offset:40
	global_load_dword v64, v26, s[2:3] offset:80
	;; [unrolled: 1-line block ×10, first 2 shown]
	ds_read2_b32 v[50:51], v27 offset1:10
	ds_read2_b32 v[52:53], v27 offset0:20 offset1:30
	ds_read2_b32 v[54:55], v27 offset0:40 offset1:50
	;; [unrolled: 1-line block ×3, first 2 shown]
	global_load_dword v73, v26, s[2:3] offset:440
	ds_read2_b32 v[58:59], v27 offset0:80 offset1:90
	ds_read2_b32 v[60:61], v27 offset0:100 offset1:110
	global_load_dword v74, v26, s[2:3] offset:480
	global_load_dword v75, v26, s[2:3] offset:520
	global_load_dword v76, v26, s[2:3] offset:560
	global_load_dword v77, v26, s[2:3] offset:600
	global_load_dword v78, v26, s[2:3] offset:640
	s_waitcnt lgkmcnt(5)
	v_lshrrev_b32_e32 v79, 16, v50
	v_lshrrev_b32_e32 v80, 16, v51
	s_waitcnt lgkmcnt(4)
	v_lshrrev_b32_e32 v81, 16, v52
	v_lshrrev_b32_e32 v82, 16, v53
	;; [unrolled: 3-line block ×5, first 2 shown]
	s_waitcnt vmcnt(13)
	v_mul_f16_sdwa v91, v82, v65 dst_sel:DWORD dst_unused:UNUSED_PAD src0_sel:DWORD src1_sel:WORD_1
	v_mul_f16_sdwa v92, v53, v65 dst_sel:DWORD dst_unused:UNUSED_PAD src0_sel:DWORD src1_sel:WORD_1
	s_waitcnt vmcnt(12)
	v_mul_f16_sdwa v93, v83, v66 dst_sel:DWORD dst_unused:UNUSED_PAD src0_sel:DWORD src1_sel:WORD_1
	v_mul_f16_sdwa v94, v54, v66 dst_sel:DWORD dst_unused:UNUSED_PAD src0_sel:DWORD src1_sel:WORD_1
	;; [unrolled: 1-line block ×4, first 2 shown]
	v_fma_f16 v50, v50, v62, -v89
	v_fma_f16 v62, v79, v62, v90
	v_pack_b32_f16 v50, v50, v62
	v_mul_f16_sdwa v62, v80, v63 dst_sel:DWORD dst_unused:UNUSED_PAD src0_sel:DWORD src1_sel:WORD_1
	v_mul_f16_sdwa v79, v51, v63 dst_sel:DWORD dst_unused:UNUSED_PAD src0_sel:DWORD src1_sel:WORD_1
	v_mul_f16_sdwa v89, v81, v64 dst_sel:DWORD dst_unused:UNUSED_PAD src0_sel:DWORD src1_sel:WORD_1
	v_mul_f16_sdwa v90, v52, v64 dst_sel:DWORD dst_unused:UNUSED_PAD src0_sel:DWORD src1_sel:WORD_1
	s_waitcnt vmcnt(11)
	v_mul_f16_sdwa v95, v84, v67 dst_sel:DWORD dst_unused:UNUSED_PAD src0_sel:DWORD src1_sel:WORD_1
	v_mul_f16_sdwa v96, v55, v67 dst_sel:DWORD dst_unused:UNUSED_PAD src0_sel:DWORD src1_sel:WORD_1
	s_waitcnt vmcnt(10)
	v_mul_f16_sdwa v97, v85, v68 dst_sel:DWORD dst_unused:UNUSED_PAD src0_sel:DWORD src1_sel:WORD_1
	v_mul_f16_sdwa v98, v56, v68 dst_sel:DWORD dst_unused:UNUSED_PAD src0_sel:DWORD src1_sel:WORD_1
	;; [unrolled: 3-line block ×3, first 2 shown]
	v_fma_f16 v51, v51, v63, -v62
	v_fma_f16 v62, v80, v63, v79
	v_fma_f16 v52, v52, v64, -v89
	v_fma_f16 v63, v81, v64, v90
	;; [unrolled: 2-line block ×7, first 2 shown]
	v_pack_b32_f16 v51, v51, v62
	s_waitcnt vmcnt(8)
	v_mul_f16_sdwa v101, v87, v70 dst_sel:DWORD dst_unused:UNUSED_PAD src0_sel:DWORD src1_sel:WORD_1
	v_mul_f16_sdwa v102, v58, v70 dst_sel:DWORD dst_unused:UNUSED_PAD src0_sel:DWORD src1_sel:WORD_1
	s_waitcnt vmcnt(7)
	v_mul_f16_sdwa v103, v88, v71 dst_sel:DWORD dst_unused:UNUSED_PAD src0_sel:DWORD src1_sel:WORD_1
	v_pack_b32_f16 v52, v52, v63
	v_pack_b32_f16 v53, v53, v64
	;; [unrolled: 1-line block ×6, first 2 shown]
	ds_write2_b32 v27, v50, v51 offset1:10
	ds_write2_b32 v27, v52, v53 offset0:20 offset1:30
	ds_write2_b32 v27, v54, v55 offset0:40 offset1:50
	;; [unrolled: 1-line block ×3, first 2 shown]
	v_mul_f16_sdwa v50, v59, v71 dst_sel:DWORD dst_unused:UNUSED_PAD src0_sel:DWORD src1_sel:WORD_1
	v_fma_f16 v58, v58, v70, -v101
	v_fma_f16 v69, v87, v70, v102
	v_fma_f16 v70, v59, v71, -v103
	v_fma_f16 v50, v88, v71, v50
	v_pack_b32_f16 v58, v58, v69
	v_pack_b32_f16 v50, v70, v50
	ds_write2_b32 v27, v58, v50 offset0:80 offset1:90
	s_waitcnt lgkmcnt(5)
	v_lshrrev_b32_e32 v50, 16, v60
	s_waitcnt vmcnt(6)
	v_mul_f16_sdwa v51, v50, v72 dst_sel:DWORD dst_unused:UNUSED_PAD src0_sel:DWORD src1_sel:WORD_1
	v_mul_f16_sdwa v52, v60, v72 dst_sel:DWORD dst_unused:UNUSED_PAD src0_sel:DWORD src1_sel:WORD_1
	v_fma_f16 v51, v60, v72, -v51
	v_fma_f16 v50, v50, v72, v52
	v_lshrrev_b32_e32 v53, 16, v61
	v_pack_b32_f16 v52, v51, v50
	s_waitcnt vmcnt(5)
	v_mul_f16_sdwa v50, v53, v73 dst_sel:DWORD dst_unused:UNUSED_PAD src0_sel:DWORD src1_sel:WORD_1
	v_fma_f16 v54, v61, v73, -v50
	ds_read2_b32 v[50:51], v27 offset0:120 offset1:130
	v_mul_f16_sdwa v55, v61, v73 dst_sel:DWORD dst_unused:UNUSED_PAD src0_sel:DWORD src1_sel:WORD_1
	v_fma_f16 v53, v53, v73, v55
	v_pack_b32_f16 v53, v54, v53
	ds_write2_b32 v27, v52, v53 offset0:100 offset1:110
	s_waitcnt lgkmcnt(1)
	v_lshrrev_b32_e32 v52, 16, v50
	s_waitcnt vmcnt(4)
	v_mul_f16_sdwa v53, v52, v74 dst_sel:DWORD dst_unused:UNUSED_PAD src0_sel:DWORD src1_sel:WORD_1
	v_fma_f16 v53, v50, v74, -v53
	v_mul_f16_sdwa v50, v50, v74 dst_sel:DWORD dst_unused:UNUSED_PAD src0_sel:DWORD src1_sel:WORD_1
	v_lshrrev_b32_e32 v54, 16, v51
	v_fma_f16 v50, v52, v74, v50
	s_waitcnt vmcnt(3)
	v_mul_f16_sdwa v52, v54, v75 dst_sel:DWORD dst_unused:UNUSED_PAD src0_sel:DWORD src1_sel:WORD_1
	v_pack_b32_f16 v50, v53, v50
	v_fma_f16 v55, v51, v75, -v52
	ds_read2_b32 v[52:53], v27 offset0:140 offset1:150
	v_mul_f16_sdwa v51, v51, v75 dst_sel:DWORD dst_unused:UNUSED_PAD src0_sel:DWORD src1_sel:WORD_1
	v_fma_f16 v51, v54, v75, v51
	v_pack_b32_f16 v51, v55, v51
	ds_write2_b32 v27, v50, v51 offset0:120 offset1:130
	s_waitcnt lgkmcnt(1)
	v_lshrrev_b32_e32 v50, 16, v52
	s_waitcnt vmcnt(2)
	v_mul_f16_sdwa v51, v50, v76 dst_sel:DWORD dst_unused:UNUSED_PAD src0_sel:DWORD src1_sel:WORD_1
	v_fma_f16 v51, v52, v76, -v51
	v_mul_f16_sdwa v52, v52, v76 dst_sel:DWORD dst_unused:UNUSED_PAD src0_sel:DWORD src1_sel:WORD_1
	v_fma_f16 v50, v50, v76, v52
	v_pack_b32_f16 v50, v51, v50
	v_lshrrev_b32_e32 v51, 16, v53
	ds_read_b32 v54, v27 offset:640
	s_waitcnt vmcnt(1)
	v_mul_f16_sdwa v52, v51, v77 dst_sel:DWORD dst_unused:UNUSED_PAD src0_sel:DWORD src1_sel:WORD_1
	v_fma_f16 v52, v53, v77, -v52
	v_mul_f16_sdwa v53, v53, v77 dst_sel:DWORD dst_unused:UNUSED_PAD src0_sel:DWORD src1_sel:WORD_1
	v_fma_f16 v51, v51, v77, v53
	v_pack_b32_f16 v51, v52, v51
	ds_write2_b32 v27, v50, v51 offset0:140 offset1:150
	s_waitcnt lgkmcnt(1)
	v_lshrrev_b32_e32 v50, 16, v54
	s_waitcnt vmcnt(0)
	v_mul_f16_sdwa v51, v50, v78 dst_sel:DWORD dst_unused:UNUSED_PAD src0_sel:DWORD src1_sel:WORD_1
	v_mul_f16_sdwa v52, v54, v78 dst_sel:DWORD dst_unused:UNUSED_PAD src0_sel:DWORD src1_sel:WORD_1
	v_fma_f16 v51, v54, v78, -v51
	v_fma_f16 v50, v50, v78, v52
	v_pack_b32_f16 v50, v51, v50
	ds_write_b32 v27, v50 offset:640
.LBB0_9:
	s_or_b64 exec, exec, s[0:1]
	s_waitcnt lgkmcnt(0)
	s_barrier
	s_and_saveexec_b64 s[0:1], vcc
	s_cbranch_execz .LBB0_11
; %bb.10:
	ds_read2_b32 v[15:16], v27 offset1:10
	ds_read2_b32 v[17:18], v27 offset0:20 offset1:30
	ds_read2_b32 v[19:20], v27 offset0:40 offset1:50
	ds_read2_b32 v[21:22], v27 offset0:60 offset1:70
	ds_read2_b32 v[23:24], v27 offset0:80 offset1:90
	ds_read2_b32 v[11:12], v27 offset0:100 offset1:110
	ds_read2_b32 v[9:10], v27 offset0:120 offset1:130
	ds_read2_b32 v[13:14], v27 offset0:140 offset1:150
	ds_read_b32 v30, v27 offset:640
	s_waitcnt lgkmcnt(8)
	v_lshrrev_b32_e32 v40, 16, v15
	v_lshrrev_b32_e32 v41, 16, v16
	s_waitcnt lgkmcnt(7)
	v_lshrrev_b32_e32 v42, 16, v17
	v_lshrrev_b32_e32 v43, 16, v18
	s_waitcnt lgkmcnt(6)
	v_lshrrev_b32_e32 v44, 16, v19
	v_lshrrev_b32_e32 v45, 16, v20
	s_waitcnt lgkmcnt(5)
	v_lshrrev_b32_e32 v46, 16, v21
	v_lshrrev_b32_e32 v47, 16, v22
	s_waitcnt lgkmcnt(4)
	v_lshrrev_b32_e32 v48, 16, v23
	v_lshrrev_b32_e32 v49, 16, v24
	s_waitcnt lgkmcnt(3)
	v_lshrrev_b32_e32 v32, 16, v11
	v_lshrrev_b32_e32 v34, 16, v12
	s_waitcnt lgkmcnt(2)
	v_lshrrev_b32_e32 v36, 16, v9
	v_lshrrev_b32_e32 v35, 16, v10
	s_waitcnt lgkmcnt(1)
	v_lshrrev_b32_e32 v33, 16, v13
	v_lshrrev_b32_e32 v31, 16, v14
	s_waitcnt lgkmcnt(0)
	v_lshrrev_b32_e32 v37, 16, v30
.LBB0_11:
	s_or_b64 exec, exec, s[0:1]
	s_barrier
	s_and_saveexec_b64 s[0:1], vcc
	s_cbranch_execz .LBB0_13
; %bb.12:
	v_add_f16_e32 v72, v37, v41
	v_mul_f16_e32 v73, 0xbbdd, v72
	v_sub_f16_e32 v50, v16, v30
	s_movk_i32 s25, 0x31e1
	v_fma_f16 v51, v50, s25, v73
	v_add_f16_e32 v74, v31, v42
	v_add_f16_e32 v52, v40, v51
	v_mul_f16_e32 v75, 0x3b76, v74
	v_sub_f16_e32 v51, v17, v14
	s_mov_b32 s15, 0xb5c8
	v_fma_f16 v53, v51, s15, v75
	v_add_f16_e32 v76, v33, v43
	v_add_f16_e32 v52, v53, v52
	v_mul_f16_e32 v77, 0xbacd, v76
	v_sub_f16_e32 v53, v18, v13
	s_movk_i32 s21, 0x3836
	v_fma_f16 v54, v53, s21, v77
	v_add_f16_e32 v78, v35, v44
	v_add_f16_e32 v52, v54, v52
	v_mul_f16_e32 v79, 0x39e9, v78
	v_sub_f16_e32 v54, v19, v10
	s_mov_b32 s18, 0xb964
	v_fma_f16 v55, v54, s18, v79
	v_add_f16_e32 v80, v36, v45
	;; [unrolled: 12-line block ×3, first 2 shown]
	v_add_f16_e32 v52, v57, v52
	v_mul_f16_e32 v85, 0xb461, v84
	v_sub_f16_e32 v57, v22, v11
	s_movk_i32 s26, 0x3bb2
	v_fma_f16 v58, v57, s26, v85
	v_add_f16_e32 v86, v49, v48
	v_add_f16_e32 v52, v58, v52
	v_mul_f16_e32 v87, 0x2de8, v86
	v_sub_f16_e32 v58, v23, v24
	s_mov_b32 s23, 0xbbf7
	v_fma_f16 v59, v58, s23, v87
	v_sub_f16_e32 v88, v41, v37
	s_mov_b32 s2, 0xbbdd
	v_add_f16_e32 v52, v59, v52
	v_add_f16_e32 v59, v30, v16
	v_mul_f16_e32 v89, 0xb1e1, v88
	v_fma_f16 v60, v59, s2, v89
	v_sub_f16_e32 v90, v42, v31
	s_movk_i32 s4, 0x3b76
	v_add_f16_e32 v61, v15, v60
	v_add_f16_e32 v60, v14, v17
	v_mul_f16_e32 v91, 0x35c8, v90
	v_fma_f16 v62, v60, s4, v91
	v_sub_f16_e32 v92, v43, v33
	s_mov_b32 s3, 0xbacd
	v_add_f16_e32 v62, v62, v61
	v_add_f16_e32 v61, v13, v18
	v_mul_f16_e32 v93, 0xb836, v92
	v_fma_f16 v63, v61, s3, v93
	v_sub_f16_e32 v94, v44, v35
	s_movk_i32 s14, 0x39e9
	v_add_f16_e32 v63, v63, v62
	v_add_f16_e32 v62, v10, v19
	v_mul_f16_e32 v95, 0x3964, v94
	;; [unrolled: 12-line block ×4, first 2 shown]
	v_fma_f16 v68, v67, s19, v103
	v_mul_f16_e32 v104, 0xbacd, v72
	v_add_f16_e32 v64, v68, v64
	v_fma_f16 v68, v50, s21, v104
	v_mul_f16_e32 v105, 0x3722, v74
	s_movk_i32 s34, 0x3bf7
	v_add_f16_e32 v68, v40, v68
	v_fma_f16 v69, v51, s20, v105
	v_mul_f16_e32 v106, 0x2de8, v76
	s_mov_b32 s27, 0xba62
	v_add_f16_e32 v68, v69, v68
	v_fma_f16 v69, v53, s34, v106
	v_mul_f16_e32 v107, 0xb8d2, v78
	s_movk_i32 s28, 0x35c8
	v_add_f16_e32 v68, v69, v68
	v_fma_f16 v69, v54, s27, v107
	v_mul_f16_e32 v108, 0x3b76, v80
	v_add_f16_e32 v68, v69, v68
	v_fma_f16 v69, v55, s28, v108
	v_mul_f16_e32 v109, 0xbbdd, v82
	;; [unrolled: 3-line block ×13, first 2 shown]
	s_mov_b32 s29, 0xbbb2
	v_add_f16_e32 v69, v70, v69
	v_fma_f16 v70, v50, s31, v120
	v_mul_f16_e32 v121, 0xb461, v74
	v_add_f16_e32 v70, v40, v70
	v_fma_f16 v71, v51, s29, v121
	v_mul_f16_e32 v122, 0x3b76, v76
	;; [unrolled: 3-line block ×4, first 2 shown]
	s_movk_i32 s33, 0x3964
	v_add_f16_e32 v70, v71, v70
	v_fma_f16 v71, v55, s23, v124
	v_mul_f16_e32 v125, 0x39e9, v82
	v_add_f16_e32 v70, v71, v70
	v_fma_f16 v71, v56, s33, v125
	v_mul_f16_e32 v126, 0xbbdd, v84
	;; [unrolled: 3-line block ×5, first 2 shown]
	v_add_f16_e32 v71, v15, v71
	v_fma_f16 v130, v60, s17, v129
	v_add_f16_e32 v71, v130, v71
	v_mul_f16_e32 v130, 0xb5c8, v92
	v_fma_f16 v131, v61, s4, v130
	v_add_f16_e32 v71, v131, v71
	v_mul_f16_e32 v131, 0xb836, v94
	;; [unrolled: 3-line block ×7, first 2 shown]
	s_mov_b32 s24, 0xb836
	v_fma_f16 v137, v50, s26, v136
	v_mul_f16_e32 v138, 0xbacd, v74
	v_add_f16_e32 v137, v40, v137
	v_fma_f16 v139, v51, s24, v138
	v_add_f16_e32 v137, v139, v137
	v_mul_f16_e32 v139, 0x39e9, v76
	v_fma_f16 v140, v53, s18, v139
	s_movk_i32 s30, 0x3b29
	v_add_f16_e32 v137, v140, v137
	v_mul_f16_e32 v140, 0x3722, v78
	v_add_f16_e32 v16, v16, v15
	v_fma_f16 v141, v54, s30, v140
	v_add_f16_e32 v16, v17, v16
	v_add_f16_e32 v137, v141, v137
	v_mul_f16_e32 v141, 0xbbdd, v80
	v_add_f16_e32 v16, v18, v16
	v_fma_f16 v142, v55, s25, v141
	v_add_f16_e32 v16, v19, v16
	;; [unrolled: 5-line block ×5, first 2 shown]
	s_mov_b32 s22, 0xb1e1
	v_add_f16_e32 v137, v145, v137
	v_mul_f16_e32 v145, 0xbbb2, v88
	v_add_f16_e32 v11, v12, v11
	v_fma_f16 v146, v59, s17, v145
	v_mul_f16_e32 v147, 0x3836, v90
	v_add_f16_e32 v9, v9, v11
	v_fma_f16 v11, v50, s22, v73
	v_add_f16_e32 v146, v15, v146
	v_fma_f16 v148, v60, s3, v147
	;; [unrolled: 2-line block ×3, first 2 shown]
	v_add_f16_e32 v146, v148, v146
	v_mul_f16_e32 v148, 0x3964, v92
	v_add_f16_e32 v11, v12, v11
	v_fma_f16 v12, v53, s24, v77
	v_fma_f16 v149, v61, s14, v148
	v_add_f16_e32 v11, v12, v11
	v_fma_f16 v12, v54, s33, v79
	v_add_f16_e32 v146, v149, v146
	v_mul_f16_e32 v149, 0xbb29, v94
	v_add_f16_e32 v11, v12, v11
	v_fma_f16 v12, v55, s27, v81
	v_fma_f16 v150, v62, s16, v149
	v_add_f16_e32 v11, v12, v11
	v_fma_f16 v12, v56, s30, v83
	;; [unrolled: 7-line block ×3, first 2 shown]
	v_add_f16_e32 v146, v151, v146
	v_mul_f16_e32 v151, 0x3bf7, v98
	v_add_f16_e32 v9, v10, v9
	v_add_f16_e32 v11, v12, v11
	v_fma_f16 v12, v59, s2, -v89
	v_fma_f16 v152, v65, s19, v151
	v_add_f16_e32 v9, v13, v9
	v_add_f16_e32 v12, v15, v12
	v_fma_f16 v13, v60, s4, -v91
	v_add_f16_e32 v146, v152, v146
	v_mul_f16_e32 v152, 0xb5c8, v100
	v_add_f16_e32 v12, v13, v12
	v_fma_f16 v13, v61, s3, -v93
	v_fma_f16 v153, v66, s4, v152
	v_add_f16_e32 v12, v13, v12
	v_fma_f16 v13, v62, s14, -v95
	v_add_f16_e32 v146, v153, v146
	v_mul_f16_e32 v153, 0xba62, v102
	v_add_f16_e32 v12, v13, v12
	v_fma_f16 v13, v63, s5, -v97
	v_fma_f16 v154, v67, s5, v153
	;; [unrolled: 7-line block ×3, first 2 shown]
	v_mul_f16_e32 v156, 0xbbdd, v74
	v_add_f16_e32 v12, v13, v12
	v_fma_f16 v13, v67, s19, -v103
	v_add_f16_e32 v155, v40, v155
	v_fma_f16 v157, v51, s25, v156
	v_add_f16_e32 v12, v13, v12
	v_fma_f16 v13, v50, s24, v104
	v_add_f16_e32 v155, v157, v155
	v_mul_f16_e32 v157, 0xb461, v76
	v_add_f16_e32 v9, v14, v9
	v_add_f16_e32 v13, v40, v13
	v_fma_f16 v14, v51, s30, v105
	v_fma_f16 v158, v53, s29, v157
	v_add_f16_e32 v13, v14, v13
	v_fma_f16 v14, v53, s23, v106
	v_add_f16_e32 v155, v158, v155
	v_mul_f16_e32 v158, 0x3b76, v78
	v_add_f16_e32 v13, v14, v13
	v_fma_f16 v14, v54, s31, v107
	v_fma_f16 v159, v54, s15, v158
	v_add_f16_e32 v13, v14, v13
	v_fma_f16 v14, v55, s15, v108
	v_add_f16_e32 v155, v159, v155
	v_mul_f16_e32 v159, 0x3722, v80
	;; [unrolled: 7-line block ×3, first 2 shown]
	v_add_f16_e32 v13, v14, v13
	v_fma_f16 v14, v58, s29, v111
	v_fma_f16 v161, v56, s21, v160
	v_add_f16_e32 v13, v14, v13
	v_fma_f16 v14, v59, s3, -v112
	v_add_f16_e32 v155, v161, v155
	v_mul_f16_e32 v161, 0xb8d2, v84
	v_add_f16_e32 v14, v15, v14
	v_fma_f16 v16, v60, s16, -v113
	v_fma_f16 v162, v57, s27, v161
	v_add_f16_e32 v14, v16, v14
	v_fma_f16 v16, v61, s19, -v114
	v_add_f16_e32 v155, v162, v155
	v_mul_f16_e32 v162, 0x39e9, v86
	v_add_f16_e32 v14, v16, v14
	v_fma_f16 v16, v62, s5, -v115
	;; [unrolled: 7-line block ×3, first 2 shown]
	v_fma_f16 v164, v59, s19, v163
	v_mul_f16_e32 v165, 0xb1e1, v90
	v_add_f16_e32 v14, v16, v14
	v_fma_f16 v16, v66, s14, -v118
	v_add_f16_e32 v164, v15, v164
	v_fma_f16 v166, v60, s2, v165
	v_add_f16_e32 v14, v16, v14
	v_fma_f16 v16, v67, s17, -v119
	v_add_f16_e32 v164, v166, v164
	v_mul_f16_e32 v166, 0x3bb2, v92
	v_add_f16_e32 v14, v16, v14
	v_fma_f16 v16, v50, s27, v120
	v_fma_f16 v167, v61, s17, v166
	v_add_f16_e32 v16, v40, v16
	v_fma_f16 v17, v51, s26, v121
	v_add_f16_e32 v164, v167, v164
	v_mul_f16_e32 v167, 0x35c8, v94
	v_add_f16_e32 v16, v17, v16
	v_fma_f16 v17, v53, s15, v122
	v_fma_f16 v168, v62, s4, v167
	v_add_f16_e32 v16, v17, v16
	v_fma_f16 v17, v54, s24, v123
	;; [unrolled: 7-line block ×4, first 2 shown]
	v_add_f16_e32 v164, v170, v164
	v_mul_f16_e32 v170, 0x3a62, v100
	v_add_f16_e32 v16, v17, v16
	v_fma_f16 v17, v59, s5, -v128
	v_fma_f16 v171, v66, s5, v170
	v_add_f16_e32 v17, v15, v17
	v_fma_f16 v18, v60, s17, -v129
	v_add_f16_e32 v164, v171, v164
	v_mul_f16_e32 v171, 0x3964, v102
	v_add_f16_e32 v17, v18, v17
	v_fma_f16 v18, v61, s4, -v130
	v_fma_f16 v172, v67, s14, v171
	v_add_f16_e32 v17, v18, v17
	v_fma_f16 v18, v62, s3, -v131
	v_add_f16_e32 v164, v172, v164
	v_mul_f16_e32 v172, 0x3722, v72
	v_add_f16_e32 v17, v18, v17
	v_fma_f16 v18, v63, s19, -v132
	v_fma_f16 v173, v50, s30, v172
	v_mul_f16_e32 v174, 0xb8d2, v74
	v_add_f16_e32 v17, v18, v17
	v_fma_f16 v18, v65, s14, -v133
	v_add_f16_e32 v173, v40, v173
	v_fma_f16 v175, v51, s31, v174
	v_add_f16_e32 v17, v18, v17
	v_fma_f16 v18, v66, s2, -v134
	v_add_f16_e32 v173, v175, v173
	v_mul_f16_e32 v175, 0xbbdd, v76
	v_add_f16_e32 v17, v18, v17
	v_fma_f16 v18, v67, s16, -v135
	v_fma_f16 v176, v53, s22, v175
	v_add_f16_e32 v17, v18, v17
	v_fma_f16 v18, v50, s29, v136
	v_add_f16_e32 v173, v176, v173
	v_mul_f16_e32 v176, 0xb461, v78
	v_add_f16_e32 v18, v40, v18
	v_fma_f16 v19, v51, s21, v138
	v_fma_f16 v177, v54, s29, v176
	v_add_f16_e32 v18, v19, v18
	v_fma_f16 v19, v53, s33, v139
	v_add_f16_e32 v173, v177, v173
	v_mul_f16_e32 v177, 0x39e9, v80
	v_add_f16_e32 v18, v19, v18
	v_fma_f16 v19, v54, s20, v140
	;; [unrolled: 7-line block ×4, first 2 shown]
	v_fma_f16 v180, v57, s34, v179
	v_add_f16_e32 v18, v19, v18
	v_fma_f16 v19, v59, s17, -v145
	v_add_f16_e32 v173, v180, v173
	v_mul_f16_e32 v180, 0xbacd, v86
	v_add_f16_e32 v19, v15, v19
	v_fma_f16 v20, v60, s3, -v147
	v_fma_f16 v181, v58, s21, v180
	v_add_f16_e32 v19, v20, v19
	v_fma_f16 v20, v61, s14, -v148
	v_add_f16_e32 v173, v181, v173
	v_mul_f16_e32 v181, 0xbb29, v88
	v_add_f16_e32 v19, v20, v19
	v_fma_f16 v20, v62, s16, -v149
	v_fma_f16 v182, v59, s16, v181
	v_mul_f16_e32 v183, 0xba62, v90
	v_add_f16_e32 v19, v20, v19
	v_fma_f16 v20, v63, s2, -v150
	v_add_f16_e32 v182, v15, v182
	v_fma_f16 v184, v60, s5, v183
	v_add_f16_e32 v19, v20, v19
	v_fma_f16 v20, v65, s19, -v151
	v_add_f16_e32 v182, v184, v182
	v_mul_f16_e32 v184, 0x31e1, v92
	v_add_f16_e32 v19, v20, v19
	v_fma_f16 v20, v66, s4, -v152
	v_fma_f16 v185, v61, s2, v184
	v_add_f16_e32 v19, v20, v19
	v_fma_f16 v20, v67, s5, -v153
	v_add_f16_e32 v182, v185, v182
	v_mul_f16_e32 v185, 0x3bb2, v94
	v_add_f16_e32 v19, v20, v19
	v_fma_f16 v20, v50, s23, v154
	v_fma_f16 v186, v62, s17, v185
	v_add_f16_e32 v20, v40, v20
	v_fma_f16 v21, v51, s22, v156
	v_add_f16_e32 v182, v186, v182
	v_mul_f16_e32 v186, 0x3964, v96
	v_add_f16_e32 v20, v21, v20
	v_fma_f16 v21, v53, s26, v157
	v_fma_f16 v187, v63, s14, v186
	v_add_f16_e32 v20, v21, v20
	v_fma_f16 v21, v54, s28, v158
	;; [unrolled: 7-line block ×4, first 2 shown]
	v_add_f16_e32 v182, v189, v182
	v_mul_f16_e32 v189, 0xb836, v102
	v_add_f16_e32 v20, v21, v20
	v_fma_f16 v21, v59, s19, -v163
	v_fma_f16 v190, v67, s3, v189
	v_add_f16_e32 v21, v15, v21
	v_fma_f16 v22, v60, s2, -v165
	v_add_f16_e32 v182, v190, v182
	v_mul_f16_e32 v190, 0x39e9, v72
	v_add_f16_e32 v21, v22, v21
	v_fma_f16 v22, v61, s17, -v166
	v_fma_f16 v191, v50, s33, v190
	v_mul_f16_e32 v192, 0x2de8, v74
	v_add_f16_e32 v21, v22, v21
	v_fma_f16 v22, v62, s4, -v167
	v_add_f16_e32 v191, v40, v191
	v_fma_f16 v193, v51, s34, v192
	v_add_f16_e32 v21, v22, v21
	v_fma_f16 v22, v63, s16, -v168
	v_add_f16_e32 v191, v193, v191
	v_mul_f16_e32 v193, 0xb8d2, v76
	v_add_f16_e32 v21, v22, v21
	v_fma_f16 v22, v65, s3, -v169
	v_fma_f16 v194, v53, s31, v193
	v_add_f16_e32 v21, v22, v21
	v_fma_f16 v22, v66, s5, -v170
	v_add_f16_e32 v191, v194, v191
	v_mul_f16_e32 v194, 0xbbdd, v78
	v_add_f16_e32 v21, v22, v21
	v_fma_f16 v22, v67, s14, -v171
	v_fma_f16 v195, v54, s25, v194
	v_add_f16_e32 v21, v22, v21
	v_fma_f16 v22, v50, s20, v172
	v_add_f16_e32 v191, v195, v191
	v_mul_f16_e32 v195, 0xbacd, v80
	v_add_f16_e32 v22, v40, v22
	v_fma_f16 v23, v51, s27, v174
	v_fma_f16 v196, v55, s24, v195
	v_add_f16_e32 v22, v23, v22
	v_fma_f16 v23, v53, s25, v175
	v_add_f16_e32 v191, v196, v191
	v_mul_f16_e32 v196, 0xb461, v82
	v_add_f16_e32 v22, v23, v22
	v_fma_f16 v23, v54, s26, v176
	;; [unrolled: 7-line block ×4, first 2 shown]
	v_fma_f16 v199, v58, s15, v198
	v_add_f16_e32 v22, v23, v22
	v_fma_f16 v23, v59, s16, -v181
	v_add_f16_e32 v191, v199, v191
	v_mul_f16_e32 v199, 0xb964, v88
	v_add_f16_e32 v23, v15, v23
	v_fma_f16 v24, v60, s5, -v183
	v_fma_f16 v200, v59, s14, v199
	v_mul_f16_e32 v201, 0xbbf7, v90
	v_add_f16_e32 v23, v24, v23
	v_fma_f16 v24, v61, s2, -v184
	v_add_f16_e32 v200, v15, v200
	v_fma_f16 v202, v60, s19, v201
	v_add_f16_e32 v10, v41, v40
	v_add_f16_e32 v23, v24, v23
	v_fma_f16 v24, v62, s17, -v185
	v_add_f16_e32 v200, v202, v200
	v_mul_f16_e32 v202, 0xba62, v92
	v_add_f16_e32 v10, v42, v10
	v_add_f16_e32 v23, v24, v23
	v_fma_f16 v24, v63, s14, -v186
	v_fma_f16 v203, v61, s5, v202
	v_add_f16_e32 v10, v43, v10
	v_add_f16_e32 v23, v24, v23
	v_fma_f16 v24, v65, s4, -v187
	v_add_f16_e32 v200, v203, v200
	v_mul_f16_e32 v203, 0xb1e1, v94
	v_add_f16_e32 v10, v44, v10
	v_add_f16_e32 v23, v24, v23
	v_fma_f16 v24, v66, s19, -v188
	v_fma_f16 v204, v62, s2, v203
	v_add_f16_e32 v10, v45, v10
	v_add_f16_e32 v23, v24, v23
	v_fma_f16 v24, v67, s3, -v189
	v_add_f16_e32 v200, v204, v200
	v_mul_f16_e32 v204, 0x3836, v96
	v_add_f16_e32 v10, v46, v10
	v_add_f16_e32 v23, v24, v23
	v_fma_f16 v24, v50, s18, v190
	v_fma_f16 v205, v63, s3, v204
	v_add_f16_e32 v9, v30, v9
	v_add_f16_e32 v10, v47, v10
	;; [unrolled: 1-line block ×3, first 2 shown]
	v_fma_f16 v30, v51, s23, v192
	v_add_f16_e32 v200, v205, v200
	v_mul_f16_e32 v205, 0x3bb2, v98
	v_add_f16_e32 v10, v48, v10
	v_add_f16_e32 v24, v30, v24
	v_fma_f16 v30, v53, s27, v193
	v_fma_f16 v206, v65, s17, v205
	v_add_f16_e32 v10, v49, v10
	v_add_f16_e32 v24, v30, v24
	v_fma_f16 v30, v54, s22, v194
	v_add_f16_e32 v200, v206, v200
	v_mul_f16_e32 v206, 0x3b29, v100
	v_add_f16_e32 v10, v32, v10
	v_add_f16_e32 v24, v30, v24
	v_fma_f16 v30, v55, s21, v195
	v_fma_f16 v207, v66, s16, v206
	v_add_f16_e32 v10, v34, v10
	v_add_f16_e32 v24, v30, v24
	v_fma_f16 v30, v56, s26, v196
	v_add_f16_e32 v200, v207, v200
	v_mul_f16_e32 v207, 0x35c8, v102
	v_add_f16_e32 v10, v36, v10
	v_add_f16_e32 v24, v30, v24
	v_fma_f16 v30, v57, s30, v197
	v_fma_f16 v208, v67, s4, v207
	v_mul_f16_e32 v72, 0x3b76, v72
	v_add_f16_e32 v10, v35, v10
	v_add_f16_e32 v24, v30, v24
	v_fma_f16 v30, v58, s28, v198
	v_add_f16_e32 v200, v208, v200
	v_fma_f16 v208, v50, s28, v72
	v_mul_f16_e32 v74, 0x39e9, v74
	v_add_f16_e32 v10, v33, v10
	v_add_f16_e32 v24, v30, v24
	v_fma_f16 v30, v59, s14, -v199
	v_add_f16_e32 v208, v40, v208
	v_fma_f16 v209, v51, s33, v74
	v_mul_f16_e32 v76, 0x3722, v76
	v_add_f16_e32 v10, v31, v10
	v_add_f16_e32 v30, v15, v30
	v_fma_f16 v31, v60, s19, -v201
	v_add_f16_e32 v208, v209, v208
	v_fma_f16 v209, v53, s30, v76
	v_mul_f16_e32 v78, 0x2de8, v78
	v_add_f16_e32 v30, v31, v30
	v_fma_f16 v31, v61, s5, -v202
	v_add_f16_e32 v208, v209, v208
	v_fma_f16 v209, v54, s34, v78
	v_mul_f16_e32 v80, 0xb461, v80
	;; [unrolled: 5-line block ×7, first 2 shown]
	v_add_f16_e32 v30, v31, v30
	v_fma_f16 v31, v50, s15, v72
	v_add_f16_e32 v209, v15, v209
	v_fma_f16 v210, v60, s14, v90
	v_mul_f16_e32 v92, 0xbb29, v92
	v_add_f16_e32 v31, v40, v31
	v_fma_f16 v32, v51, s18, v74
	v_add_f16_e32 v209, v210, v209
	v_fma_f16 v210, v61, s16, v92
	v_mul_f16_e32 v94, 0xbbf7, v94
	;; [unrolled: 5-line block ×6, first 2 shown]
	v_add_f16_e32 v31, v32, v31
	v_fma_f16 v32, v57, s24, v84
	v_add_f16_e32 v209, v210, v209
	v_fma_f16 v210, v67, s2, v102
	;; [unrolled: 2-line block ×3, first 2 shown]
	v_add_f16_e32 v209, v210, v209
	v_add_f16_e32 v10, v37, v10
	v_add_f16_e32 v31, v32, v31
	v_fma_f16 v32, v59, s4, -v88
	v_add_f16_e32 v15, v15, v32
	v_fma_f16 v32, v60, s14, -v90
	v_lshl_add_u32 v28, v29, 2, v28
	v_pack_b32_f16 v29, v209, v208
	v_pack_b32_f16 v9, v9, v10
	v_add_f16_e32 v15, v32, v15
	v_fma_f16 v32, v61, s16, -v92
	ds_write2_b32 v28, v9, v29 offset1:1
	v_pack_b32_f16 v9, v182, v173
	v_pack_b32_f16 v10, v200, v191
	v_add_f16_e32 v15, v32, v15
	v_fma_f16 v32, v62, s19, -v94
	ds_write2_b32 v28, v10, v9 offset0:2 offset1:3
	v_pack_b32_f16 v9, v146, v137
	v_pack_b32_f16 v10, v164, v155
	v_add_f16_e32 v15, v32, v15
	v_fma_f16 v32, v63, s17, -v96
	ds_write2_b32 v28, v10, v9 offset0:4 offset1:5
	;; [unrolled: 5-line block ×5, first 2 shown]
	v_pack_b32_f16 v9, v21, v20
	v_pack_b32_f16 v10, v19, v18
	v_add_f16_e32 v15, v32, v15
	ds_write2_b32 v28, v10, v9 offset0:12 offset1:13
	v_pack_b32_f16 v9, v30, v24
	v_pack_b32_f16 v10, v23, v22
	ds_write2_b32 v28, v10, v9 offset0:14 offset1:15
	v_pack_b32_f16 v9, v15, v31
	ds_write_b32 v28, v9 offset:64
.LBB0_13:
	s_or_b64 exec, exec, s[0:1]
	s_waitcnt lgkmcnt(0)
	s_barrier
	ds_read2_b32 v[9:10], v39 offset1:17
	ds_read2_b32 v[11:12], v39 offset0:34 offset1:51
	ds_read2_b32 v[13:14], v39 offset0:68 offset1:85
	;; [unrolled: 1-line block ×4, first 2 shown]
	s_waitcnt lgkmcnt(4)
	v_lshrrev_b32_e32 v20, 16, v10
	v_mul_f16_sdwa v32, v0, v20 dst_sel:DWORD dst_unused:UNUSED_PAD src0_sel:WORD_1 src1_sel:DWORD
	s_waitcnt lgkmcnt(3)
	v_lshrrev_b32_e32 v21, 16, v11
	v_fma_f16 v32, v0, v10, v32
	v_mul_f16_sdwa v10, v0, v10 dst_sel:DWORD dst_unused:UNUSED_PAD src0_sel:WORD_1 src1_sel:DWORD
	v_fma_f16 v0, v0, v20, -v10
	v_mul_f16_sdwa v10, v1, v21 dst_sel:DWORD dst_unused:UNUSED_PAD src0_sel:WORD_1 src1_sel:DWORD
	v_lshrrev_b32_e32 v22, 16, v12
	v_fma_f16 v10, v1, v11, v10
	v_mul_f16_sdwa v11, v1, v11 dst_sel:DWORD dst_unused:UNUSED_PAD src0_sel:WORD_1 src1_sel:DWORD
	v_fma_f16 v1, v1, v21, -v11
	v_mul_f16_sdwa v11, v2, v22 dst_sel:DWORD dst_unused:UNUSED_PAD src0_sel:WORD_1 src1_sel:DWORD
	s_waitcnt lgkmcnt(2)
	v_lshrrev_b32_e32 v23, 16, v13
	v_fma_f16 v11, v2, v12, v11
	v_mul_f16_sdwa v12, v2, v12 dst_sel:DWORD dst_unused:UNUSED_PAD src0_sel:WORD_1 src1_sel:DWORD
	v_fma_f16 v2, v2, v22, -v12
	v_mul_f16_sdwa v12, v3, v23 dst_sel:DWORD dst_unused:UNUSED_PAD src0_sel:WORD_1 src1_sel:DWORD
	v_lshrrev_b32_e32 v24, 16, v14
	v_fma_f16 v12, v3, v13, v12
	v_mul_f16_sdwa v13, v3, v13 dst_sel:DWORD dst_unused:UNUSED_PAD src0_sel:WORD_1 src1_sel:DWORD
	v_fma_f16 v3, v3, v23, -v13
	v_mul_f16_sdwa v13, v4, v24 dst_sel:DWORD dst_unused:UNUSED_PAD src0_sel:WORD_1 src1_sel:DWORD
	s_waitcnt lgkmcnt(1)
	v_lshrrev_b32_e32 v28, 16, v15
	v_fma_f16 v13, v4, v14, v13
	v_mul_f16_sdwa v14, v4, v14 dst_sel:DWORD dst_unused:UNUSED_PAD src0_sel:WORD_1 src1_sel:DWORD
	v_fma_f16 v4, v4, v24, -v14
	v_mul_f16_sdwa v14, v5, v28 dst_sel:DWORD dst_unused:UNUSED_PAD src0_sel:WORD_1 src1_sel:DWORD
	v_lshrrev_b32_e32 v29, 16, v16
	v_fma_f16 v14, v5, v15, v14
	v_mul_f16_sdwa v15, v5, v15 dst_sel:DWORD dst_unused:UNUSED_PAD src0_sel:WORD_1 src1_sel:DWORD
	v_fma_f16 v5, v5, v28, -v15
	v_mul_f16_sdwa v15, v6, v29 dst_sel:DWORD dst_unused:UNUSED_PAD src0_sel:WORD_1 src1_sel:DWORD
	s_waitcnt lgkmcnt(0)
	v_lshrrev_b32_e32 v30, 16, v17
	v_fma_f16 v15, v6, v16, v15
	v_mul_f16_sdwa v16, v6, v16 dst_sel:DWORD dst_unused:UNUSED_PAD src0_sel:WORD_1 src1_sel:DWORD
	v_fma_f16 v6, v6, v29, -v16
	v_mul_f16_sdwa v16, v7, v30 dst_sel:DWORD dst_unused:UNUSED_PAD src0_sel:WORD_1 src1_sel:DWORD
	v_fma_f16 v16, v7, v17, v16
	v_mul_f16_sdwa v17, v7, v17 dst_sel:DWORD dst_unused:UNUSED_PAD src0_sel:WORD_1 src1_sel:DWORD
	v_fma_f16 v7, v7, v30, -v17
	v_add_f16_e32 v21, v12, v14
	v_fma_f16 v21, v21, -0.5, v9
	v_sub_f16_e32 v22, v1, v7
	s_mov_b32 s0, 0xbb9c
	s_movk_i32 s3, 0x3b9c
	v_fma_f16 v23, v22, s0, v21
	v_sub_f16_e32 v24, v3, v5
	s_mov_b32 s1, 0xb8b4
	v_sub_f16_e32 v28, v10, v12
	v_sub_f16_e32 v29, v16, v14
	v_fma_f16 v21, v22, s3, v21
	s_movk_i32 s4, 0x38b4
	v_fma_f16 v23, v24, s1, v23
	v_add_f16_e32 v28, v28, v29
	s_movk_i32 s2, 0x34f2
	v_fma_f16 v21, v24, s4, v21
	v_fma_f16 v23, v28, s2, v23
	;; [unrolled: 1-line block ×3, first 2 shown]
	v_add_f16_e32 v28, v10, v16
	v_lshrrev_b32_e32 v19, 16, v9
	v_add_f16_e32 v20, v9, v10
	v_fma_f16 v9, v28, -0.5, v9
	v_add_f16_e32 v20, v20, v12
	v_fma_f16 v28, v24, s3, v9
	v_fma_f16 v9, v24, s0, v9
	v_add_f16_e32 v24, v3, v5
	v_add_f16_e32 v20, v20, v14
	v_sub_f16_e32 v29, v12, v10
	v_sub_f16_e32 v30, v14, v16
	v_fma_f16 v24, v24, -0.5, v19
	v_sub_f16_e32 v10, v10, v16
	v_add_f16_e32 v20, v20, v16
	v_fma_f16 v28, v22, s1, v28
	v_add_f16_e32 v29, v29, v30
	v_fma_f16 v9, v22, s4, v9
	v_fma_f16 v16, v10, s3, v24
	v_sub_f16_e32 v12, v12, v14
	v_fma_f16 v28, v29, s2, v28
	v_fma_f16 v9, v29, s2, v9
	;; [unrolled: 1-line block ×3, first 2 shown]
	v_sub_f16_e32 v16, v1, v3
	v_sub_f16_e32 v29, v7, v5
	v_fma_f16 v24, v10, s0, v24
	v_lshrrev_b32_e32 v31, 16, v18
	v_add_f16_e32 v22, v19, v1
	v_add_f16_e32 v16, v16, v29
	v_fma_f16 v24, v12, s1, v24
	v_mul_f16_sdwa v17, v38, v31 dst_sel:DWORD dst_unused:UNUSED_PAD src0_sel:WORD_1 src1_sel:DWORD
	v_add_f16_e32 v22, v22, v3
	v_fma_f16 v14, v16, s2, v14
	v_fma_f16 v16, v16, s2, v24
	v_add_f16_e32 v24, v1, v7
	v_fma_f16 v17, v38, v18, v17
	v_mul_f16_sdwa v18, v38, v18 dst_sel:DWORD dst_unused:UNUSED_PAD src0_sel:WORD_1 src1_sel:DWORD
	v_add_f16_e32 v22, v22, v5
	v_fma_f16 v19, v24, -0.5, v19
	v_fma_f16 v18, v38, v31, -v18
	v_add_f16_e32 v22, v22, v7
	v_fma_f16 v24, v12, s0, v19
	v_sub_f16_e32 v1, v3, v1
	v_sub_f16_e32 v3, v5, v7
	v_fma_f16 v5, v12, s3, v19
	v_add_f16_e32 v7, v13, v15
	v_fma_f16 v24, v10, s4, v24
	v_add_f16_e32 v1, v1, v3
	v_fma_f16 v5, v10, s1, v5
	v_fma_f16 v7, v7, -0.5, v32
	v_sub_f16_e32 v10, v2, v18
	v_fma_f16 v3, v1, s2, v24
	v_fma_f16 v12, v10, s0, v7
	v_sub_f16_e32 v19, v4, v6
	v_sub_f16_e32 v24, v11, v13
	;; [unrolled: 1-line block ×3, first 2 shown]
	v_fma_f16 v7, v10, s3, v7
	v_fma_f16 v12, v19, s1, v12
	v_add_f16_e32 v24, v24, v29
	v_fma_f16 v7, v19, s4, v7
	v_fma_f16 v12, v24, s2, v12
	;; [unrolled: 1-line block ×3, first 2 shown]
	v_add_f16_e32 v24, v11, v17
	v_fma_f16 v1, v1, s2, v5
	v_add_f16_e32 v5, v32, v11
	v_fma_f16 v24, v24, -0.5, v32
	v_add_f16_e32 v5, v5, v13
	v_fma_f16 v29, v19, s3, v24
	v_fma_f16 v19, v19, s0, v24
	v_add_f16_e32 v24, v4, v6
	v_add_f16_e32 v5, v5, v15
	v_sub_f16_e32 v30, v13, v11
	v_sub_f16_e32 v31, v15, v17
	v_fma_f16 v24, v24, -0.5, v0
	v_sub_f16_e32 v11, v11, v17
	v_add_f16_e32 v5, v5, v17
	v_fma_f16 v29, v10, s1, v29
	v_add_f16_e32 v30, v30, v31
	v_fma_f16 v10, v10, s4, v19
	v_fma_f16 v17, v11, s3, v24
	v_sub_f16_e32 v13, v13, v15
	v_fma_f16 v29, v30, s2, v29
	v_fma_f16 v10, v30, s2, v10
	;; [unrolled: 1-line block ×3, first 2 shown]
	v_sub_f16_e32 v17, v2, v4
	v_sub_f16_e32 v30, v18, v6
	v_fma_f16 v24, v11, s0, v24
	v_add_f16_e32 v17, v17, v30
	v_fma_f16 v24, v13, s1, v24
	v_fma_f16 v15, v17, s2, v15
	;; [unrolled: 1-line block ×3, first 2 shown]
	v_add_f16_e32 v24, v2, v18
	v_add_f16_e32 v19, v0, v2
	v_fma_f16 v0, v24, -0.5, v0
	v_add_f16_e32 v19, v19, v4
	v_fma_f16 v24, v13, s0, v0
	v_sub_f16_e32 v2, v4, v2
	v_sub_f16_e32 v4, v6, v18
	v_fma_f16 v0, v13, s3, v0
	v_fma_f16 v24, v11, s4, v24
	v_add_f16_e32 v2, v2, v4
	v_fma_f16 v0, v11, s1, v0
	v_add_f16_e32 v19, v19, v6
	v_fma_f16 v4, v2, s2, v24
	v_fma_f16 v0, v2, s2, v0
	v_mul_f16_e32 v6, 0xb8b4, v15
	s_movk_i32 s0, 0x3a79
	v_mul_f16_e32 v15, 0x3a79, v15
	v_add_f16_e32 v19, v19, v18
	v_fma_f16 v6, v12, s0, v6
	v_mul_f16_e32 v13, 0xbb9c, v4
	v_mul_f16_e32 v24, 0xbb9c, v0
	s_mov_b32 s0, 0xb4f2
	v_fma_f16 v12, v12, s4, v15
	v_mul_f16_e32 v4, 0x34f2, v4
	v_mul_f16_e32 v0, 0xb4f2, v0
	v_add_f16_e32 v2, v20, v5
	v_add_f16_e32 v11, v23, v6
	v_fma_f16 v13, v29, s2, v13
	v_fma_f16 v24, v10, s0, v24
	v_mul_f16_e32 v31, 0xb8b4, v17
	s_mov_b32 s0, 0xba79
	v_add_f16_e32 v33, v22, v19
	v_add_f16_e32 v15, v14, v12
	v_fma_f16 v4, v29, s3, v4
	v_fma_f16 v0, v10, s3, v0
	v_mul_f16_e32 v17, 0xba79, v17
	v_add_f16_e32 v18, v28, v13
	v_add_f16_e32 v30, v9, v24
	v_fma_f16 v31, v7, s0, v31
	v_add_f16_e32 v29, v3, v4
	v_add_f16_e32 v10, v1, v0
	v_fma_f16 v7, v7, s4, v17
	v_sub_f16_e32 v3, v3, v4
	v_pack_b32_f16 v2, v2, v33
	v_pack_b32_f16 v4, v11, v15
	v_add_f16_e32 v32, v21, v31
	v_add_f16_e32 v17, v16, v7
	v_sub_f16_e32 v5, v20, v5
	v_sub_f16_e32 v19, v22, v19
	ds_write2_b32 v27, v2, v4 offset1:17
	v_pack_b32_f16 v2, v18, v29
	v_pack_b32_f16 v4, v30, v10
	v_sub_f16_e32 v6, v23, v6
	v_sub_f16_e32 v13, v28, v13
	;; [unrolled: 1-line block ×7, first 2 shown]
	ds_write2_b32 v27, v2, v4 offset0:34 offset1:51
	v_pack_b32_f16 v2, v32, v17
	v_pack_b32_f16 v4, v5, v19
	ds_write2_b32 v27, v2, v4 offset0:68 offset1:85
	v_pack_b32_f16 v2, v6, v12
	v_pack_b32_f16 v3, v13, v3
	;; [unrolled: 1-line block ×4, first 2 shown]
	ds_write2_b32 v27, v2, v3 offset0:102 offset1:119
	ds_write2_b32 v27, v0, v1 offset0:136 offset1:153
	s_waitcnt lgkmcnt(0)
	s_barrier
	s_and_b64 exec, exec, vcc
	s_cbranch_execz .LBB0_15
; %bb.14:
	global_load_dword v9, v26, s[6:7]
	v_mad_u64_u32 v[1:2], s[0:1], s10, v8, 0
	v_mad_u64_u32 v[3:4], s[0:1], s8, v25, 0
	ds_read_b32 v10, v27
	s_mov_b32 s14, 0x18181818
	v_mad_u64_u32 v[5:6], s[0:1], s11, v8, v[2:3]
	s_mov_b32 s15, 0x3f781818
	v_mov_b32_e32 v11, s13
	v_mad_u64_u32 v[6:7], s[0:1], s9, v25, v[4:5]
	s_waitcnt lgkmcnt(0)
	v_lshrrev_b32_e32 v7, 16, v10
	v_mov_b32_e32 v2, v5
	v_mov_b32_e32 v4, v6
	v_lshlrev_b64 v[1:2], 2, v[1:2]
	v_lshlrev_b64 v[3:4], 2, v[3:4]
	v_add_co_u32_e32 v1, vcc, s12, v1
	v_addc_co_u32_e32 v2, vcc, v11, v2, vcc
	s_movk_i32 s16, 0x1ff
	v_add_co_u32_e32 v3, vcc, v1, v3
	v_addc_co_u32_e32 v4, vcc, v2, v4, vcc
	s_movk_i32 s10, 0xffe
	v_mov_b32_e32 v0, 0x7c00
	s_movk_i32 s18, 0x40f
	s_mov_b32 s17, 0x8000
	s_mul_hi_u32 s12, s8, 40
	s_mul_i32 s11, s8, 40
	s_waitcnt vmcnt(0)
	v_mul_f16_sdwa v5, v7, v9 dst_sel:DWORD dst_unused:UNUSED_PAD src0_sel:DWORD src1_sel:WORD_1
	v_fma_f16 v5, v10, v9, v5
	v_mul_f16_sdwa v6, v10, v9 dst_sel:DWORD dst_unused:UNUSED_PAD src0_sel:DWORD src1_sel:WORD_1
	v_cvt_f32_f16_e32 v5, v5
	v_fma_f16 v6, v9, v7, -v6
	v_cvt_f32_f16_e32 v7, v6
	v_cvt_f64_f32_e32 v[5:6], v5
	v_cvt_f64_f32_e32 v[7:8], v7
	v_mul_f64 v[5:6], v[5:6], s[14:15]
	v_mul_f64 v[7:8], v[7:8], s[14:15]
	v_and_or_b32 v5, v6, s16, v5
	v_cmp_ne_u32_e32 vcc, 0, v5
	v_and_or_b32 v7, v8, s16, v7
	v_lshrrev_b32_e32 v9, 8, v6
	v_bfe_u32 v10, v6, 20, 11
	v_cndmask_b32_e64 v5, 0, 1, vcc
	v_cmp_ne_u32_e32 vcc, 0, v7
	v_lshrrev_b32_e32 v11, 8, v8
	v_bfe_u32 v12, v8, 20, 11
	v_sub_u32_e32 v13, 0x3f1, v10
	v_cndmask_b32_e64 v7, 0, 1, vcc
	v_and_or_b32 v5, v9, s10, v5
	v_sub_u32_e32 v14, 0x3f1, v12
	v_med3_i32 v9, v13, 0, 13
	v_and_or_b32 v7, v11, s10, v7
	v_or_b32_e32 v13, 0x1000, v5
	v_add_u32_e32 v10, 0xfffffc10, v10
	v_med3_i32 v11, v14, 0, 13
	v_cmp_ne_u32_e32 vcc, 0, v5
	v_or_b32_e32 v15, 0x1000, v7
	v_lshrrev_b32_e32 v17, v9, v13
	v_add_u32_e32 v12, 0xfffffc10, v12
	v_lshl_or_b32 v14, v10, 12, v5
	v_cndmask_b32_e64 v5, 0, 1, vcc
	v_cmp_ne_u32_e32 vcc, 0, v7
	v_lshrrev_b32_e32 v18, v11, v15
	v_lshlrev_b32_e32 v9, v9, v17
	v_lshl_or_b32 v16, v12, 12, v7
	v_cndmask_b32_e64 v7, 0, 1, vcc
	v_lshlrev_b32_e32 v11, v11, v18
	v_cmp_ne_u32_e32 vcc, v9, v13
	v_cndmask_b32_e64 v9, 0, 1, vcc
	v_cmp_ne_u32_e32 vcc, v11, v15
	v_cndmask_b32_e64 v11, 0, 1, vcc
	v_or_b32_e32 v9, v17, v9
	v_cmp_gt_i32_e32 vcc, 1, v10
	v_cndmask_b32_e32 v9, v14, v9, vcc
	v_or_b32_e32 v11, v18, v11
	v_cmp_gt_i32_e32 vcc, 1, v12
	v_and_b32_e32 v13, 7, v9
	v_cndmask_b32_e32 v11, v16, v11, vcc
	v_cmp_lt_i32_e32 vcc, 5, v13
	v_cmp_eq_u32_e64 s[0:1], 3, v13
	v_lshrrev_b32_e32 v9, 2, v9
	v_and_b32_e32 v14, 7, v11
	s_or_b64 vcc, s[0:1], vcc
	v_cmp_lt_i32_e64 s[2:3], 5, v14
	v_cmp_eq_u32_e64 s[4:5], 3, v14
	v_addc_co_u32_e32 v9, vcc, 0, v9, vcc
	v_lshrrev_b32_e32 v11, 2, v11
	s_or_b64 vcc, s[4:5], s[2:3]
	v_addc_co_u32_e32 v11, vcc, 0, v11, vcc
	v_cmp_gt_i32_e32 vcc, 31, v10
	v_cndmask_b32_e32 v9, v0, v9, vcc
	v_cmp_gt_i32_e32 vcc, 31, v12
	v_lshl_or_b32 v5, v5, 9, v0
	v_cndmask_b32_e32 v11, v0, v11, vcc
	v_cmp_eq_u32_e32 vcc, s18, v10
	v_lshrrev_b32_e32 v6, 16, v6
	v_lshl_or_b32 v7, v7, 9, v0
	v_cndmask_b32_e32 v5, v9, v5, vcc
	v_cmp_eq_u32_e32 vcc, s18, v12
	v_lshrrev_b32_e32 v8, 16, v8
	v_cndmask_b32_e32 v7, v11, v7, vcc
	v_and_or_b32 v5, v6, s17, v5
	v_and_or_b32 v6, v8, s17, v7
	v_and_b32_e32 v5, 0xffff, v5
	v_lshl_or_b32 v5, v6, 16, v5
	global_store_dword v[3:4], v5, off
	global_load_dword v7, v26, s[6:7] offset:40
	ds_read2_b32 v[5:6], v27 offset0:10 offset1:20
	s_mul_i32 s0, s9, 40
	s_add_i32 s12, s12, s0
	v_add_co_u32_e32 v3, vcc, s11, v3
	s_waitcnt lgkmcnt(0)
	v_lshrrev_b32_e32 v8, 16, v5
	s_waitcnt vmcnt(0)
	v_mul_f16_sdwa v9, v8, v7 dst_sel:DWORD dst_unused:UNUSED_PAD src0_sel:DWORD src1_sel:WORD_1
	v_fma_f16 v9, v5, v7, v9
	v_mul_f16_sdwa v5, v5, v7 dst_sel:DWORD dst_unused:UNUSED_PAD src0_sel:DWORD src1_sel:WORD_1
	v_cvt_f32_f16_e32 v9, v9
	v_fma_f16 v5, v7, v8, -v5
	v_cvt_f32_f16_e32 v5, v5
	v_cvt_f64_f32_e32 v[7:8], v9
	v_cvt_f64_f32_e32 v[9:10], v5
	v_mov_b32_e32 v5, s12
	v_mul_f64 v[7:8], v[7:8], s[14:15]
	v_addc_co_u32_e32 v4, vcc, v4, v5, vcc
	v_mul_f64 v[9:10], v[9:10], s[14:15]
	v_and_or_b32 v5, v8, s16, v7
	v_cmp_ne_u32_e32 vcc, 0, v5
	v_lshrrev_b32_e32 v7, 8, v8
	v_and_or_b32 v9, v10, s16, v9
	v_bfe_u32 v11, v8, 20, 11
	v_cndmask_b32_e64 v5, 0, 1, vcc
	v_cmp_ne_u32_e32 vcc, 0, v9
	v_lshrrev_b32_e32 v12, 8, v10
	v_bfe_u32 v13, v10, 20, 11
	v_sub_u32_e32 v14, 0x3f1, v11
	v_cndmask_b32_e64 v9, 0, 1, vcc
	v_and_or_b32 v5, v7, s10, v5
	v_sub_u32_e32 v15, 0x3f1, v13
	v_med3_i32 v7, v14, 0, 13
	v_and_or_b32 v9, v12, s10, v9
	v_or_b32_e32 v14, 0x1000, v5
	v_add_u32_e32 v11, 0xfffffc10, v11
	v_med3_i32 v12, v15, 0, 13
	v_cmp_ne_u32_e32 vcc, 0, v5
	v_or_b32_e32 v16, 0x1000, v9
	v_lshrrev_b32_e32 v18, v7, v14
	v_add_u32_e32 v13, 0xfffffc10, v13
	v_lshl_or_b32 v15, v11, 12, v5
	v_cndmask_b32_e64 v5, 0, 1, vcc
	v_cmp_ne_u32_e32 vcc, 0, v9
	v_lshrrev_b32_e32 v19, v12, v16
	v_lshlrev_b32_e32 v7, v7, v18
	v_lshl_or_b32 v17, v13, 12, v9
	v_cndmask_b32_e64 v9, 0, 1, vcc
	v_lshlrev_b32_e32 v12, v12, v19
	v_cmp_ne_u32_e32 vcc, v7, v14
	v_cndmask_b32_e64 v7, 0, 1, vcc
	v_cmp_ne_u32_e32 vcc, v12, v16
	v_cndmask_b32_e64 v12, 0, 1, vcc
	v_or_b32_e32 v7, v18, v7
	v_cmp_gt_i32_e32 vcc, 1, v11
	v_cndmask_b32_e32 v7, v15, v7, vcc
	v_or_b32_e32 v12, v19, v12
	v_cmp_gt_i32_e32 vcc, 1, v13
	v_and_b32_e32 v14, 7, v7
	v_cndmask_b32_e32 v12, v17, v12, vcc
	v_cmp_lt_i32_e32 vcc, 5, v14
	v_cmp_eq_u32_e64 s[0:1], 3, v14
	v_lshrrev_b32_e32 v7, 2, v7
	v_and_b32_e32 v15, 7, v12
	s_or_b64 vcc, s[0:1], vcc
	v_cmp_lt_i32_e64 s[2:3], 5, v15
	v_cmp_eq_u32_e64 s[4:5], 3, v15
	v_addc_co_u32_e32 v7, vcc, 0, v7, vcc
	v_lshrrev_b32_e32 v12, 2, v12
	s_or_b64 vcc, s[4:5], s[2:3]
	v_addc_co_u32_e32 v12, vcc, 0, v12, vcc
	v_cmp_gt_i32_e32 vcc, 31, v11
	v_cndmask_b32_e32 v7, v0, v7, vcc
	v_cmp_gt_i32_e32 vcc, 31, v13
	v_lshl_or_b32 v5, v5, 9, v0
	v_cndmask_b32_e32 v12, v0, v12, vcc
	v_cmp_eq_u32_e32 vcc, s18, v11
	v_lshrrev_b32_e32 v8, 16, v8
	v_lshl_or_b32 v9, v9, 9, v0
	v_cndmask_b32_e32 v5, v7, v5, vcc
	v_cmp_eq_u32_e32 vcc, s18, v13
	v_lshrrev_b32_e32 v10, 16, v10
	v_cndmask_b32_e32 v7, v12, v9, vcc
	v_and_or_b32 v5, v8, s17, v5
	v_and_or_b32 v7, v10, s17, v7
	v_and_b32_e32 v5, 0xffff, v5
	v_lshl_or_b32 v5, v7, 16, v5
	global_store_dword v[3:4], v5, off
	global_load_dword v5, v26, s[6:7] offset:80
	v_lshrrev_b32_e32 v7, 16, v6
	v_mov_b32_e32 v9, s12
	v_add_co_u32_e32 v3, vcc, s11, v3
	v_addc_co_u32_e32 v4, vcc, v4, v9, vcc
	s_waitcnt vmcnt(0)
	v_mul_f16_sdwa v8, v7, v5 dst_sel:DWORD dst_unused:UNUSED_PAD src0_sel:DWORD src1_sel:WORD_1
	v_fma_f16 v8, v6, v5, v8
	v_mul_f16_sdwa v6, v6, v5 dst_sel:DWORD dst_unused:UNUSED_PAD src0_sel:DWORD src1_sel:WORD_1
	v_cvt_f32_f16_e32 v8, v8
	v_fma_f16 v5, v5, v7, -v6
	v_cvt_f32_f16_e32 v7, v5
	v_cvt_f64_f32_e32 v[5:6], v8
	v_cvt_f64_f32_e32 v[7:8], v7
	v_mul_f64 v[5:6], v[5:6], s[14:15]
	v_mul_f64 v[7:8], v[7:8], s[14:15]
	v_and_or_b32 v5, v6, s16, v5
	v_cmp_ne_u32_e32 vcc, 0, v5
	v_and_or_b32 v7, v8, s16, v7
	v_lshrrev_b32_e32 v9, 8, v6
	v_bfe_u32 v10, v6, 20, 11
	v_cndmask_b32_e64 v5, 0, 1, vcc
	v_cmp_ne_u32_e32 vcc, 0, v7
	v_lshrrev_b32_e32 v11, 8, v8
	v_bfe_u32 v12, v8, 20, 11
	v_sub_u32_e32 v13, 0x3f1, v10
	v_cndmask_b32_e64 v7, 0, 1, vcc
	v_and_or_b32 v5, v9, s10, v5
	v_sub_u32_e32 v14, 0x3f1, v12
	v_med3_i32 v9, v13, 0, 13
	v_and_or_b32 v7, v11, s10, v7
	v_or_b32_e32 v13, 0x1000, v5
	v_add_u32_e32 v10, 0xfffffc10, v10
	v_med3_i32 v11, v14, 0, 13
	v_cmp_ne_u32_e32 vcc, 0, v5
	v_or_b32_e32 v15, 0x1000, v7
	v_lshrrev_b32_e32 v17, v9, v13
	v_add_u32_e32 v12, 0xfffffc10, v12
	v_lshl_or_b32 v14, v10, 12, v5
	v_cndmask_b32_e64 v5, 0, 1, vcc
	v_cmp_ne_u32_e32 vcc, 0, v7
	v_lshrrev_b32_e32 v18, v11, v15
	v_lshlrev_b32_e32 v9, v9, v17
	v_lshl_or_b32 v16, v12, 12, v7
	v_cndmask_b32_e64 v7, 0, 1, vcc
	v_lshlrev_b32_e32 v11, v11, v18
	v_cmp_ne_u32_e32 vcc, v9, v13
	v_cndmask_b32_e64 v9, 0, 1, vcc
	v_cmp_ne_u32_e32 vcc, v11, v15
	v_cndmask_b32_e64 v11, 0, 1, vcc
	v_or_b32_e32 v9, v17, v9
	v_cmp_gt_i32_e32 vcc, 1, v10
	v_cndmask_b32_e32 v9, v14, v9, vcc
	v_or_b32_e32 v11, v18, v11
	v_cmp_gt_i32_e32 vcc, 1, v12
	v_and_b32_e32 v13, 7, v9
	v_cndmask_b32_e32 v11, v16, v11, vcc
	v_cmp_lt_i32_e32 vcc, 5, v13
	v_cmp_eq_u32_e64 s[0:1], 3, v13
	v_lshrrev_b32_e32 v9, 2, v9
	v_and_b32_e32 v14, 7, v11
	s_or_b64 vcc, s[0:1], vcc
	v_cmp_lt_i32_e64 s[2:3], 5, v14
	v_cmp_eq_u32_e64 s[4:5], 3, v14
	v_addc_co_u32_e32 v9, vcc, 0, v9, vcc
	v_lshrrev_b32_e32 v11, 2, v11
	s_or_b64 vcc, s[4:5], s[2:3]
	v_addc_co_u32_e32 v11, vcc, 0, v11, vcc
	v_cmp_gt_i32_e32 vcc, 31, v10
	v_cndmask_b32_e32 v9, v0, v9, vcc
	v_cmp_gt_i32_e32 vcc, 31, v12
	v_lshl_or_b32 v5, v5, 9, v0
	v_cndmask_b32_e32 v11, v0, v11, vcc
	v_cmp_eq_u32_e32 vcc, s18, v10
	v_lshrrev_b32_e32 v6, 16, v6
	v_lshl_or_b32 v7, v7, 9, v0
	v_cndmask_b32_e32 v5, v9, v5, vcc
	v_cmp_eq_u32_e32 vcc, s18, v12
	v_lshrrev_b32_e32 v8, 16, v8
	v_cndmask_b32_e32 v7, v11, v7, vcc
	v_and_or_b32 v5, v6, s17, v5
	v_and_or_b32 v6, v8, s17, v7
	v_and_b32_e32 v5, 0xffff, v5
	v_lshl_or_b32 v5, v6, 16, v5
	global_store_dword v[3:4], v5, off
	global_load_dword v7, v26, s[6:7] offset:120
	ds_read2_b32 v[5:6], v27 offset0:30 offset1:40
	v_add_co_u32_e32 v3, vcc, s11, v3
	s_waitcnt lgkmcnt(0)
	v_lshrrev_b32_e32 v8, 16, v5
	s_waitcnt vmcnt(0)
	v_mul_f16_sdwa v9, v8, v7 dst_sel:DWORD dst_unused:UNUSED_PAD src0_sel:DWORD src1_sel:WORD_1
	v_fma_f16 v9, v5, v7, v9
	v_mul_f16_sdwa v5, v5, v7 dst_sel:DWORD dst_unused:UNUSED_PAD src0_sel:DWORD src1_sel:WORD_1
	v_cvt_f32_f16_e32 v9, v9
	v_fma_f16 v5, v7, v8, -v5
	v_cvt_f32_f16_e32 v5, v5
	v_cvt_f64_f32_e32 v[7:8], v9
	v_cvt_f64_f32_e32 v[9:10], v5
	v_mov_b32_e32 v5, s12
	v_mul_f64 v[7:8], v[7:8], s[14:15]
	v_addc_co_u32_e32 v4, vcc, v4, v5, vcc
	v_mul_f64 v[9:10], v[9:10], s[14:15]
	v_and_or_b32 v5, v8, s16, v7
	v_cmp_ne_u32_e32 vcc, 0, v5
	v_lshrrev_b32_e32 v7, 8, v8
	v_and_or_b32 v9, v10, s16, v9
	v_bfe_u32 v11, v8, 20, 11
	v_cndmask_b32_e64 v5, 0, 1, vcc
	v_cmp_ne_u32_e32 vcc, 0, v9
	v_lshrrev_b32_e32 v12, 8, v10
	v_bfe_u32 v13, v10, 20, 11
	v_sub_u32_e32 v14, 0x3f1, v11
	v_cndmask_b32_e64 v9, 0, 1, vcc
	v_and_or_b32 v5, v7, s10, v5
	v_sub_u32_e32 v15, 0x3f1, v13
	v_med3_i32 v7, v14, 0, 13
	v_and_or_b32 v9, v12, s10, v9
	v_or_b32_e32 v14, 0x1000, v5
	v_add_u32_e32 v11, 0xfffffc10, v11
	v_med3_i32 v12, v15, 0, 13
	v_cmp_ne_u32_e32 vcc, 0, v5
	v_or_b32_e32 v16, 0x1000, v9
	v_lshrrev_b32_e32 v18, v7, v14
	v_add_u32_e32 v13, 0xfffffc10, v13
	v_lshl_or_b32 v15, v11, 12, v5
	v_cndmask_b32_e64 v5, 0, 1, vcc
	v_cmp_ne_u32_e32 vcc, 0, v9
	v_lshrrev_b32_e32 v19, v12, v16
	v_lshlrev_b32_e32 v7, v7, v18
	v_lshl_or_b32 v17, v13, 12, v9
	v_cndmask_b32_e64 v9, 0, 1, vcc
	v_lshlrev_b32_e32 v12, v12, v19
	v_cmp_ne_u32_e32 vcc, v7, v14
	v_cndmask_b32_e64 v7, 0, 1, vcc
	v_cmp_ne_u32_e32 vcc, v12, v16
	v_cndmask_b32_e64 v12, 0, 1, vcc
	v_or_b32_e32 v7, v18, v7
	v_cmp_gt_i32_e32 vcc, 1, v11
	v_cndmask_b32_e32 v7, v15, v7, vcc
	v_or_b32_e32 v12, v19, v12
	v_cmp_gt_i32_e32 vcc, 1, v13
	v_and_b32_e32 v14, 7, v7
	v_cndmask_b32_e32 v12, v17, v12, vcc
	v_cmp_lt_i32_e32 vcc, 5, v14
	v_cmp_eq_u32_e64 s[0:1], 3, v14
	v_lshrrev_b32_e32 v7, 2, v7
	v_and_b32_e32 v15, 7, v12
	s_or_b64 vcc, s[0:1], vcc
	v_cmp_lt_i32_e64 s[2:3], 5, v15
	v_cmp_eq_u32_e64 s[4:5], 3, v15
	v_addc_co_u32_e32 v7, vcc, 0, v7, vcc
	v_lshrrev_b32_e32 v12, 2, v12
	s_or_b64 vcc, s[4:5], s[2:3]
	v_addc_co_u32_e32 v12, vcc, 0, v12, vcc
	v_cmp_gt_i32_e32 vcc, 31, v11
	v_cndmask_b32_e32 v7, v0, v7, vcc
	v_cmp_gt_i32_e32 vcc, 31, v13
	v_lshl_or_b32 v5, v5, 9, v0
	v_cndmask_b32_e32 v12, v0, v12, vcc
	v_cmp_eq_u32_e32 vcc, s18, v11
	v_lshrrev_b32_e32 v8, 16, v8
	v_lshl_or_b32 v9, v9, 9, v0
	v_cndmask_b32_e32 v5, v7, v5, vcc
	v_cmp_eq_u32_e32 vcc, s18, v13
	v_lshrrev_b32_e32 v10, 16, v10
	v_cndmask_b32_e32 v7, v12, v9, vcc
	v_and_or_b32 v5, v8, s17, v5
	v_and_or_b32 v7, v10, s17, v7
	v_and_b32_e32 v5, 0xffff, v5
	v_lshl_or_b32 v5, v7, 16, v5
	global_store_dword v[3:4], v5, off
	global_load_dword v5, v26, s[6:7] offset:160
	v_lshrrev_b32_e32 v7, 16, v6
	v_mov_b32_e32 v9, s12
	v_add_co_u32_e32 v3, vcc, s11, v3
	v_addc_co_u32_e32 v4, vcc, v4, v9, vcc
	s_waitcnt vmcnt(0)
	v_mul_f16_sdwa v8, v7, v5 dst_sel:DWORD dst_unused:UNUSED_PAD src0_sel:DWORD src1_sel:WORD_1
	v_fma_f16 v8, v6, v5, v8
	v_mul_f16_sdwa v6, v6, v5 dst_sel:DWORD dst_unused:UNUSED_PAD src0_sel:DWORD src1_sel:WORD_1
	v_cvt_f32_f16_e32 v8, v8
	v_fma_f16 v5, v5, v7, -v6
	v_cvt_f32_f16_e32 v7, v5
	v_cvt_f64_f32_e32 v[5:6], v8
	v_cvt_f64_f32_e32 v[7:8], v7
	v_mul_f64 v[5:6], v[5:6], s[14:15]
	v_mul_f64 v[7:8], v[7:8], s[14:15]
	v_and_or_b32 v5, v6, s16, v5
	v_cmp_ne_u32_e32 vcc, 0, v5
	v_and_or_b32 v7, v8, s16, v7
	v_lshrrev_b32_e32 v9, 8, v6
	v_bfe_u32 v10, v6, 20, 11
	v_cndmask_b32_e64 v5, 0, 1, vcc
	v_cmp_ne_u32_e32 vcc, 0, v7
	v_lshrrev_b32_e32 v11, 8, v8
	v_bfe_u32 v12, v8, 20, 11
	v_sub_u32_e32 v13, 0x3f1, v10
	v_cndmask_b32_e64 v7, 0, 1, vcc
	v_and_or_b32 v5, v9, s10, v5
	v_sub_u32_e32 v14, 0x3f1, v12
	v_med3_i32 v9, v13, 0, 13
	v_and_or_b32 v7, v11, s10, v7
	v_or_b32_e32 v13, 0x1000, v5
	v_add_u32_e32 v10, 0xfffffc10, v10
	v_med3_i32 v11, v14, 0, 13
	v_cmp_ne_u32_e32 vcc, 0, v5
	v_or_b32_e32 v15, 0x1000, v7
	v_lshrrev_b32_e32 v17, v9, v13
	v_add_u32_e32 v12, 0xfffffc10, v12
	v_lshl_or_b32 v14, v10, 12, v5
	v_cndmask_b32_e64 v5, 0, 1, vcc
	v_cmp_ne_u32_e32 vcc, 0, v7
	v_lshrrev_b32_e32 v18, v11, v15
	v_lshlrev_b32_e32 v9, v9, v17
	v_lshl_or_b32 v16, v12, 12, v7
	v_cndmask_b32_e64 v7, 0, 1, vcc
	v_lshlrev_b32_e32 v11, v11, v18
	v_cmp_ne_u32_e32 vcc, v9, v13
	v_cndmask_b32_e64 v9, 0, 1, vcc
	v_cmp_ne_u32_e32 vcc, v11, v15
	v_cndmask_b32_e64 v11, 0, 1, vcc
	v_or_b32_e32 v9, v17, v9
	v_cmp_gt_i32_e32 vcc, 1, v10
	v_cndmask_b32_e32 v9, v14, v9, vcc
	v_or_b32_e32 v11, v18, v11
	v_cmp_gt_i32_e32 vcc, 1, v12
	v_and_b32_e32 v13, 7, v9
	v_cndmask_b32_e32 v11, v16, v11, vcc
	v_cmp_lt_i32_e32 vcc, 5, v13
	v_cmp_eq_u32_e64 s[0:1], 3, v13
	v_lshrrev_b32_e32 v9, 2, v9
	v_and_b32_e32 v14, 7, v11
	s_or_b64 vcc, s[0:1], vcc
	v_cmp_lt_i32_e64 s[2:3], 5, v14
	v_cmp_eq_u32_e64 s[4:5], 3, v14
	v_addc_co_u32_e32 v9, vcc, 0, v9, vcc
	v_lshrrev_b32_e32 v11, 2, v11
	s_or_b64 vcc, s[4:5], s[2:3]
	v_addc_co_u32_e32 v11, vcc, 0, v11, vcc
	v_cmp_gt_i32_e32 vcc, 31, v10
	v_cndmask_b32_e32 v9, v0, v9, vcc
	v_cmp_gt_i32_e32 vcc, 31, v12
	v_lshl_or_b32 v5, v5, 9, v0
	v_cndmask_b32_e32 v11, v0, v11, vcc
	v_cmp_eq_u32_e32 vcc, s18, v10
	v_lshrrev_b32_e32 v6, 16, v6
	v_lshl_or_b32 v7, v7, 9, v0
	v_cndmask_b32_e32 v5, v9, v5, vcc
	v_cmp_eq_u32_e32 vcc, s18, v12
	v_lshrrev_b32_e32 v8, 16, v8
	v_cndmask_b32_e32 v7, v11, v7, vcc
	v_and_or_b32 v5, v6, s17, v5
	v_and_or_b32 v6, v8, s17, v7
	v_and_b32_e32 v5, 0xffff, v5
	v_lshl_or_b32 v5, v6, 16, v5
	global_store_dword v[3:4], v5, off
	global_load_dword v7, v26, s[6:7] offset:200
	ds_read2_b32 v[5:6], v27 offset0:50 offset1:60
	v_add_co_u32_e32 v3, vcc, s11, v3
	s_waitcnt lgkmcnt(0)
	v_lshrrev_b32_e32 v8, 16, v5
	s_waitcnt vmcnt(0)
	v_mul_f16_sdwa v9, v8, v7 dst_sel:DWORD dst_unused:UNUSED_PAD src0_sel:DWORD src1_sel:WORD_1
	v_fma_f16 v9, v5, v7, v9
	v_mul_f16_sdwa v5, v5, v7 dst_sel:DWORD dst_unused:UNUSED_PAD src0_sel:DWORD src1_sel:WORD_1
	v_cvt_f32_f16_e32 v9, v9
	v_fma_f16 v5, v7, v8, -v5
	v_cvt_f32_f16_e32 v5, v5
	v_cvt_f64_f32_e32 v[7:8], v9
	v_cvt_f64_f32_e32 v[9:10], v5
	v_mov_b32_e32 v5, s12
	v_mul_f64 v[7:8], v[7:8], s[14:15]
	v_addc_co_u32_e32 v4, vcc, v4, v5, vcc
	v_mul_f64 v[9:10], v[9:10], s[14:15]
	v_and_or_b32 v5, v8, s16, v7
	v_cmp_ne_u32_e32 vcc, 0, v5
	v_lshrrev_b32_e32 v7, 8, v8
	v_and_or_b32 v9, v10, s16, v9
	v_bfe_u32 v11, v8, 20, 11
	v_cndmask_b32_e64 v5, 0, 1, vcc
	v_cmp_ne_u32_e32 vcc, 0, v9
	v_lshrrev_b32_e32 v12, 8, v10
	v_bfe_u32 v13, v10, 20, 11
	v_sub_u32_e32 v14, 0x3f1, v11
	v_cndmask_b32_e64 v9, 0, 1, vcc
	v_and_or_b32 v5, v7, s10, v5
	v_sub_u32_e32 v15, 0x3f1, v13
	v_med3_i32 v7, v14, 0, 13
	v_and_or_b32 v9, v12, s10, v9
	v_or_b32_e32 v14, 0x1000, v5
	v_add_u32_e32 v11, 0xfffffc10, v11
	v_med3_i32 v12, v15, 0, 13
	v_cmp_ne_u32_e32 vcc, 0, v5
	v_or_b32_e32 v16, 0x1000, v9
	v_lshrrev_b32_e32 v18, v7, v14
	v_add_u32_e32 v13, 0xfffffc10, v13
	v_lshl_or_b32 v15, v11, 12, v5
	v_cndmask_b32_e64 v5, 0, 1, vcc
	v_cmp_ne_u32_e32 vcc, 0, v9
	v_lshrrev_b32_e32 v19, v12, v16
	v_lshlrev_b32_e32 v7, v7, v18
	v_lshl_or_b32 v17, v13, 12, v9
	v_cndmask_b32_e64 v9, 0, 1, vcc
	v_lshlrev_b32_e32 v12, v12, v19
	v_cmp_ne_u32_e32 vcc, v7, v14
	v_cndmask_b32_e64 v7, 0, 1, vcc
	v_cmp_ne_u32_e32 vcc, v12, v16
	v_cndmask_b32_e64 v12, 0, 1, vcc
	v_or_b32_e32 v7, v18, v7
	v_cmp_gt_i32_e32 vcc, 1, v11
	v_cndmask_b32_e32 v7, v15, v7, vcc
	v_or_b32_e32 v12, v19, v12
	v_cmp_gt_i32_e32 vcc, 1, v13
	v_and_b32_e32 v14, 7, v7
	v_cndmask_b32_e32 v12, v17, v12, vcc
	v_cmp_lt_i32_e32 vcc, 5, v14
	v_cmp_eq_u32_e64 s[0:1], 3, v14
	v_lshrrev_b32_e32 v7, 2, v7
	v_and_b32_e32 v15, 7, v12
	s_or_b64 vcc, s[0:1], vcc
	v_cmp_lt_i32_e64 s[2:3], 5, v15
	v_cmp_eq_u32_e64 s[4:5], 3, v15
	v_addc_co_u32_e32 v7, vcc, 0, v7, vcc
	v_lshrrev_b32_e32 v12, 2, v12
	s_or_b64 vcc, s[4:5], s[2:3]
	v_addc_co_u32_e32 v12, vcc, 0, v12, vcc
	v_cmp_gt_i32_e32 vcc, 31, v11
	v_cndmask_b32_e32 v7, v0, v7, vcc
	v_cmp_gt_i32_e32 vcc, 31, v13
	v_lshl_or_b32 v5, v5, 9, v0
	v_cndmask_b32_e32 v12, v0, v12, vcc
	v_cmp_eq_u32_e32 vcc, s18, v11
	v_lshrrev_b32_e32 v8, 16, v8
	v_lshl_or_b32 v9, v9, 9, v0
	v_cndmask_b32_e32 v5, v7, v5, vcc
	v_cmp_eq_u32_e32 vcc, s18, v13
	v_lshrrev_b32_e32 v10, 16, v10
	v_cndmask_b32_e32 v7, v12, v9, vcc
	v_and_or_b32 v5, v8, s17, v5
	v_and_or_b32 v7, v10, s17, v7
	v_and_b32_e32 v5, 0xffff, v5
	v_lshl_or_b32 v5, v7, 16, v5
	global_store_dword v[3:4], v5, off
	global_load_dword v5, v26, s[6:7] offset:240
	v_lshrrev_b32_e32 v7, 16, v6
	v_mov_b32_e32 v9, s12
	v_add_co_u32_e32 v3, vcc, s11, v3
	v_addc_co_u32_e32 v4, vcc, v4, v9, vcc
	s_waitcnt vmcnt(0)
	v_mul_f16_sdwa v8, v7, v5 dst_sel:DWORD dst_unused:UNUSED_PAD src0_sel:DWORD src1_sel:WORD_1
	v_fma_f16 v8, v6, v5, v8
	v_mul_f16_sdwa v6, v6, v5 dst_sel:DWORD dst_unused:UNUSED_PAD src0_sel:DWORD src1_sel:WORD_1
	v_cvt_f32_f16_e32 v8, v8
	v_fma_f16 v5, v5, v7, -v6
	v_cvt_f32_f16_e32 v7, v5
	v_cvt_f64_f32_e32 v[5:6], v8
	v_cvt_f64_f32_e32 v[7:8], v7
	v_mul_f64 v[5:6], v[5:6], s[14:15]
	v_mul_f64 v[7:8], v[7:8], s[14:15]
	v_and_or_b32 v5, v6, s16, v5
	v_cmp_ne_u32_e32 vcc, 0, v5
	v_and_or_b32 v7, v8, s16, v7
	v_lshrrev_b32_e32 v9, 8, v6
	v_bfe_u32 v10, v6, 20, 11
	v_cndmask_b32_e64 v5, 0, 1, vcc
	v_cmp_ne_u32_e32 vcc, 0, v7
	v_lshrrev_b32_e32 v11, 8, v8
	v_bfe_u32 v12, v8, 20, 11
	v_sub_u32_e32 v13, 0x3f1, v10
	v_cndmask_b32_e64 v7, 0, 1, vcc
	v_and_or_b32 v5, v9, s10, v5
	v_sub_u32_e32 v14, 0x3f1, v12
	v_med3_i32 v9, v13, 0, 13
	v_and_or_b32 v7, v11, s10, v7
	v_or_b32_e32 v13, 0x1000, v5
	v_add_u32_e32 v10, 0xfffffc10, v10
	v_med3_i32 v11, v14, 0, 13
	v_cmp_ne_u32_e32 vcc, 0, v5
	v_or_b32_e32 v15, 0x1000, v7
	v_lshrrev_b32_e32 v17, v9, v13
	v_add_u32_e32 v12, 0xfffffc10, v12
	v_lshl_or_b32 v14, v10, 12, v5
	v_cndmask_b32_e64 v5, 0, 1, vcc
	v_cmp_ne_u32_e32 vcc, 0, v7
	v_lshrrev_b32_e32 v18, v11, v15
	v_lshlrev_b32_e32 v9, v9, v17
	v_lshl_or_b32 v16, v12, 12, v7
	v_cndmask_b32_e64 v7, 0, 1, vcc
	v_lshlrev_b32_e32 v11, v11, v18
	v_cmp_ne_u32_e32 vcc, v9, v13
	v_cndmask_b32_e64 v9, 0, 1, vcc
	v_cmp_ne_u32_e32 vcc, v11, v15
	v_cndmask_b32_e64 v11, 0, 1, vcc
	v_or_b32_e32 v9, v17, v9
	v_cmp_gt_i32_e32 vcc, 1, v10
	v_cndmask_b32_e32 v9, v14, v9, vcc
	v_or_b32_e32 v11, v18, v11
	v_cmp_gt_i32_e32 vcc, 1, v12
	v_and_b32_e32 v13, 7, v9
	v_cndmask_b32_e32 v11, v16, v11, vcc
	v_cmp_lt_i32_e32 vcc, 5, v13
	v_cmp_eq_u32_e64 s[0:1], 3, v13
	v_lshrrev_b32_e32 v9, 2, v9
	v_and_b32_e32 v14, 7, v11
	s_or_b64 vcc, s[0:1], vcc
	v_cmp_lt_i32_e64 s[2:3], 5, v14
	v_cmp_eq_u32_e64 s[4:5], 3, v14
	v_addc_co_u32_e32 v9, vcc, 0, v9, vcc
	v_lshrrev_b32_e32 v11, 2, v11
	s_or_b64 vcc, s[4:5], s[2:3]
	v_addc_co_u32_e32 v11, vcc, 0, v11, vcc
	v_cmp_gt_i32_e32 vcc, 31, v10
	v_cndmask_b32_e32 v9, v0, v9, vcc
	v_cmp_gt_i32_e32 vcc, 31, v12
	v_lshl_or_b32 v5, v5, 9, v0
	v_cndmask_b32_e32 v11, v0, v11, vcc
	v_cmp_eq_u32_e32 vcc, s18, v10
	v_lshrrev_b32_e32 v6, 16, v6
	v_lshl_or_b32 v7, v7, 9, v0
	v_cndmask_b32_e32 v5, v9, v5, vcc
	v_cmp_eq_u32_e32 vcc, s18, v12
	v_lshrrev_b32_e32 v8, 16, v8
	v_cndmask_b32_e32 v7, v11, v7, vcc
	v_and_or_b32 v5, v6, s17, v5
	v_and_or_b32 v6, v8, s17, v7
	v_and_b32_e32 v5, 0xffff, v5
	v_lshl_or_b32 v5, v6, 16, v5
	global_store_dword v[3:4], v5, off
	global_load_dword v7, v26, s[6:7] offset:280
	ds_read2_b32 v[5:6], v27 offset0:70 offset1:80
	v_add_co_u32_e32 v3, vcc, s11, v3
	s_waitcnt lgkmcnt(0)
	v_lshrrev_b32_e32 v8, 16, v5
	s_waitcnt vmcnt(0)
	v_mul_f16_sdwa v9, v8, v7 dst_sel:DWORD dst_unused:UNUSED_PAD src0_sel:DWORD src1_sel:WORD_1
	v_fma_f16 v9, v5, v7, v9
	v_mul_f16_sdwa v5, v5, v7 dst_sel:DWORD dst_unused:UNUSED_PAD src0_sel:DWORD src1_sel:WORD_1
	v_cvt_f32_f16_e32 v9, v9
	v_fma_f16 v5, v7, v8, -v5
	v_cvt_f32_f16_e32 v5, v5
	v_cvt_f64_f32_e32 v[7:8], v9
	v_cvt_f64_f32_e32 v[9:10], v5
	v_mov_b32_e32 v5, s12
	v_mul_f64 v[7:8], v[7:8], s[14:15]
	v_addc_co_u32_e32 v4, vcc, v4, v5, vcc
	v_mul_f64 v[9:10], v[9:10], s[14:15]
	v_and_or_b32 v5, v8, s16, v7
	v_cmp_ne_u32_e32 vcc, 0, v5
	v_lshrrev_b32_e32 v7, 8, v8
	v_and_or_b32 v9, v10, s16, v9
	v_bfe_u32 v11, v8, 20, 11
	v_cndmask_b32_e64 v5, 0, 1, vcc
	v_cmp_ne_u32_e32 vcc, 0, v9
	v_lshrrev_b32_e32 v12, 8, v10
	v_bfe_u32 v13, v10, 20, 11
	v_sub_u32_e32 v14, 0x3f1, v11
	v_cndmask_b32_e64 v9, 0, 1, vcc
	v_and_or_b32 v5, v7, s10, v5
	v_sub_u32_e32 v15, 0x3f1, v13
	v_med3_i32 v7, v14, 0, 13
	v_and_or_b32 v9, v12, s10, v9
	v_or_b32_e32 v14, 0x1000, v5
	v_add_u32_e32 v11, 0xfffffc10, v11
	v_med3_i32 v12, v15, 0, 13
	v_cmp_ne_u32_e32 vcc, 0, v5
	v_or_b32_e32 v16, 0x1000, v9
	v_lshrrev_b32_e32 v18, v7, v14
	v_add_u32_e32 v13, 0xfffffc10, v13
	v_lshl_or_b32 v15, v11, 12, v5
	v_cndmask_b32_e64 v5, 0, 1, vcc
	v_cmp_ne_u32_e32 vcc, 0, v9
	v_lshrrev_b32_e32 v19, v12, v16
	v_lshlrev_b32_e32 v7, v7, v18
	v_lshl_or_b32 v17, v13, 12, v9
	v_cndmask_b32_e64 v9, 0, 1, vcc
	v_lshlrev_b32_e32 v12, v12, v19
	v_cmp_ne_u32_e32 vcc, v7, v14
	v_cndmask_b32_e64 v7, 0, 1, vcc
	v_cmp_ne_u32_e32 vcc, v12, v16
	v_cndmask_b32_e64 v12, 0, 1, vcc
	v_or_b32_e32 v7, v18, v7
	v_cmp_gt_i32_e32 vcc, 1, v11
	v_cndmask_b32_e32 v7, v15, v7, vcc
	v_or_b32_e32 v12, v19, v12
	v_cmp_gt_i32_e32 vcc, 1, v13
	v_and_b32_e32 v14, 7, v7
	v_cndmask_b32_e32 v12, v17, v12, vcc
	v_cmp_lt_i32_e32 vcc, 5, v14
	v_cmp_eq_u32_e64 s[0:1], 3, v14
	v_lshrrev_b32_e32 v7, 2, v7
	v_and_b32_e32 v15, 7, v12
	s_or_b64 vcc, s[0:1], vcc
	v_cmp_lt_i32_e64 s[2:3], 5, v15
	v_cmp_eq_u32_e64 s[4:5], 3, v15
	v_addc_co_u32_e32 v7, vcc, 0, v7, vcc
	v_lshrrev_b32_e32 v12, 2, v12
	s_or_b64 vcc, s[4:5], s[2:3]
	v_addc_co_u32_e32 v12, vcc, 0, v12, vcc
	v_cmp_gt_i32_e32 vcc, 31, v11
	v_cndmask_b32_e32 v7, v0, v7, vcc
	v_cmp_gt_i32_e32 vcc, 31, v13
	v_lshl_or_b32 v5, v5, 9, v0
	v_cndmask_b32_e32 v12, v0, v12, vcc
	v_cmp_eq_u32_e32 vcc, s18, v11
	v_lshrrev_b32_e32 v8, 16, v8
	v_lshl_or_b32 v9, v9, 9, v0
	v_cndmask_b32_e32 v5, v7, v5, vcc
	v_cmp_eq_u32_e32 vcc, s18, v13
	v_lshrrev_b32_e32 v10, 16, v10
	v_cndmask_b32_e32 v7, v12, v9, vcc
	v_and_or_b32 v5, v8, s17, v5
	v_and_or_b32 v7, v10, s17, v7
	v_and_b32_e32 v5, 0xffff, v5
	v_lshl_or_b32 v5, v7, 16, v5
	global_store_dword v[3:4], v5, off
	global_load_dword v9, v26, s[6:7] offset:320
	v_or_b32_e32 v10, 0x50, v25
	v_mad_u64_u32 v[7:8], s[0:1], s8, v10, 0
	v_lshrrev_b32_e32 v11, 16, v6
	v_mov_b32_e32 v5, v8
	s_waitcnt vmcnt(0)
	v_mul_f16_sdwa v8, v11, v9 dst_sel:DWORD dst_unused:UNUSED_PAD src0_sel:DWORD src1_sel:WORD_1
	v_fma_f16 v8, v6, v9, v8
	v_mul_f16_sdwa v6, v6, v9 dst_sel:DWORD dst_unused:UNUSED_PAD src0_sel:DWORD src1_sel:WORD_1
	v_cvt_f32_f16_e32 v8, v8
	v_fma_f16 v6, v9, v11, -v6
	v_cvt_f32_f16_e32 v11, v6
	v_mad_u64_u32 v[5:6], s[0:1], s9, v10, v[5:6]
	v_cvt_f64_f32_e32 v[8:9], v8
	v_cvt_f64_f32_e32 v[10:11], v11
	v_mul_f64 v[12:13], v[8:9], s[14:15]
	v_mov_b32_e32 v8, v5
	v_lshlrev_b64 v[5:6], 2, v[7:8]
	v_mul_f64 v[7:8], v[10:11], s[14:15]
	v_add_co_u32_e32 v5, vcc, v1, v5
	v_addc_co_u32_e32 v6, vcc, v2, v6, vcc
	v_and_or_b32 v9, v13, s16, v12
	v_cmp_ne_u32_e32 vcc, 0, v9
	v_lshrrev_b32_e32 v10, 8, v13
	v_and_or_b32 v7, v8, s16, v7
	v_bfe_u32 v11, v13, 20, 11
	v_cndmask_b32_e64 v9, 0, 1, vcc
	v_cmp_ne_u32_e32 vcc, 0, v7
	v_lshrrev_b32_e32 v12, 16, v13
	v_lshrrev_b32_e32 v13, 8, v8
	v_bfe_u32 v14, v8, 20, 11
	v_sub_u32_e32 v15, 0x3f1, v11
	v_cndmask_b32_e64 v7, 0, 1, vcc
	v_and_or_b32 v9, v10, s10, v9
	v_sub_u32_e32 v16, 0x3f1, v14
	v_med3_i32 v10, v15, 0, 13
	v_and_or_b32 v7, v13, s10, v7
	v_or_b32_e32 v15, 0x1000, v9
	v_add_u32_e32 v11, 0xfffffc10, v11
	v_med3_i32 v13, v16, 0, 13
	v_cmp_ne_u32_e32 vcc, 0, v9
	v_or_b32_e32 v17, 0x1000, v7
	v_lshrrev_b32_e32 v19, v10, v15
	v_add_u32_e32 v14, 0xfffffc10, v14
	v_lshl_or_b32 v16, v11, 12, v9
	v_cndmask_b32_e64 v9, 0, 1, vcc
	v_cmp_ne_u32_e32 vcc, 0, v7
	v_lshrrev_b32_e32 v20, v13, v17
	v_lshlrev_b32_e32 v10, v10, v19
	v_lshl_or_b32 v18, v14, 12, v7
	v_cndmask_b32_e64 v7, 0, 1, vcc
	v_lshlrev_b32_e32 v13, v13, v20
	v_cmp_ne_u32_e32 vcc, v10, v15
	v_cndmask_b32_e64 v10, 0, 1, vcc
	v_cmp_ne_u32_e32 vcc, v13, v17
	v_cndmask_b32_e64 v13, 0, 1, vcc
	v_or_b32_e32 v10, v19, v10
	v_cmp_gt_i32_e32 vcc, 1, v11
	v_cndmask_b32_e32 v10, v16, v10, vcc
	v_or_b32_e32 v13, v20, v13
	v_cmp_gt_i32_e32 vcc, 1, v14
	v_and_b32_e32 v15, 7, v10
	v_cndmask_b32_e32 v13, v18, v13, vcc
	v_cmp_lt_i32_e32 vcc, 5, v15
	v_cmp_eq_u32_e64 s[0:1], 3, v15
	v_lshrrev_b32_e32 v10, 2, v10
	v_and_b32_e32 v16, 7, v13
	s_or_b64 vcc, s[0:1], vcc
	v_cmp_lt_i32_e64 s[2:3], 5, v16
	v_cmp_eq_u32_e64 s[4:5], 3, v16
	v_addc_co_u32_e32 v10, vcc, 0, v10, vcc
	v_lshrrev_b32_e32 v13, 2, v13
	s_or_b64 vcc, s[4:5], s[2:3]
	v_addc_co_u32_e32 v13, vcc, 0, v13, vcc
	v_cmp_gt_i32_e32 vcc, 31, v11
	v_cndmask_b32_e32 v10, v0, v10, vcc
	v_cmp_gt_i32_e32 vcc, 31, v14
	v_lshl_or_b32 v9, v9, 9, v0
	v_cndmask_b32_e32 v13, v0, v13, vcc
	v_cmp_eq_u32_e32 vcc, s18, v11
	v_lshl_or_b32 v7, v7, 9, v0
	v_cndmask_b32_e32 v9, v10, v9, vcc
	v_cmp_eq_u32_e32 vcc, s18, v14
	v_lshrrev_b32_e32 v8, 16, v8
	v_cndmask_b32_e32 v7, v13, v7, vcc
	v_and_or_b32 v9, v12, s17, v9
	v_and_or_b32 v7, v8, s17, v7
	v_and_b32_e32 v8, 0xffff, v9
	v_lshl_or_b32 v7, v7, 16, v8
	global_store_dword v[5:6], v7, off
	global_load_dword v7, v26, s[6:7] offset:360
	ds_read2_b32 v[5:6], v27 offset0:90 offset1:100
	s_waitcnt lgkmcnt(0)
	v_lshrrev_b32_e32 v8, 16, v5
	s_waitcnt vmcnt(0)
	v_mul_f16_sdwa v9, v8, v7 dst_sel:DWORD dst_unused:UNUSED_PAD src0_sel:DWORD src1_sel:WORD_1
	v_fma_f16 v9, v5, v7, v9
	v_mul_f16_sdwa v5, v5, v7 dst_sel:DWORD dst_unused:UNUSED_PAD src0_sel:DWORD src1_sel:WORD_1
	v_cvt_f32_f16_e32 v9, v9
	v_fma_f16 v5, v7, v8, -v5
	v_cvt_f32_f16_e32 v5, v5
	v_cvt_f64_f32_e32 v[7:8], v9
	v_cvt_f64_f32_e32 v[9:10], v5
	v_mov_b32_e32 v5, 0x50
	v_mul_f64 v[7:8], v[7:8], s[14:15]
	v_mad_u64_u32 v[3:4], s[0:1], s8, v5, v[3:4]
	v_mul_f64 v[9:10], v[9:10], s[14:15]
	s_mul_i32 s0, s9, 0x50
	v_add_u32_e32 v4, s0, v4
	v_and_or_b32 v5, v8, s16, v7
	v_cmp_ne_u32_e32 vcc, 0, v5
	v_lshrrev_b32_e32 v7, 8, v8
	v_and_or_b32 v9, v10, s16, v9
	v_bfe_u32 v11, v8, 20, 11
	v_cndmask_b32_e64 v5, 0, 1, vcc
	v_cmp_ne_u32_e32 vcc, 0, v9
	v_lshrrev_b32_e32 v12, 8, v10
	v_bfe_u32 v13, v10, 20, 11
	v_sub_u32_e32 v14, 0x3f1, v11
	v_cndmask_b32_e64 v9, 0, 1, vcc
	v_and_or_b32 v5, v7, s10, v5
	v_sub_u32_e32 v15, 0x3f1, v13
	v_med3_i32 v7, v14, 0, 13
	v_and_or_b32 v9, v12, s10, v9
	v_or_b32_e32 v14, 0x1000, v5
	v_add_u32_e32 v11, 0xfffffc10, v11
	v_med3_i32 v12, v15, 0, 13
	v_cmp_ne_u32_e32 vcc, 0, v5
	v_or_b32_e32 v16, 0x1000, v9
	v_lshrrev_b32_e32 v18, v7, v14
	v_add_u32_e32 v13, 0xfffffc10, v13
	v_lshl_or_b32 v15, v11, 12, v5
	v_cndmask_b32_e64 v5, 0, 1, vcc
	v_cmp_ne_u32_e32 vcc, 0, v9
	v_lshrrev_b32_e32 v19, v12, v16
	v_lshlrev_b32_e32 v7, v7, v18
	v_lshl_or_b32 v17, v13, 12, v9
	v_cndmask_b32_e64 v9, 0, 1, vcc
	v_lshlrev_b32_e32 v12, v12, v19
	v_cmp_ne_u32_e32 vcc, v7, v14
	v_cndmask_b32_e64 v7, 0, 1, vcc
	v_cmp_ne_u32_e32 vcc, v12, v16
	v_cndmask_b32_e64 v12, 0, 1, vcc
	v_or_b32_e32 v7, v18, v7
	v_cmp_gt_i32_e32 vcc, 1, v11
	v_cndmask_b32_e32 v7, v15, v7, vcc
	v_or_b32_e32 v12, v19, v12
	v_cmp_gt_i32_e32 vcc, 1, v13
	v_and_b32_e32 v14, 7, v7
	v_cndmask_b32_e32 v12, v17, v12, vcc
	v_cmp_lt_i32_e32 vcc, 5, v14
	v_cmp_eq_u32_e64 s[0:1], 3, v14
	v_lshrrev_b32_e32 v7, 2, v7
	v_and_b32_e32 v15, 7, v12
	s_or_b64 vcc, s[0:1], vcc
	v_cmp_lt_i32_e64 s[2:3], 5, v15
	v_cmp_eq_u32_e64 s[4:5], 3, v15
	v_addc_co_u32_e32 v7, vcc, 0, v7, vcc
	v_lshrrev_b32_e32 v12, 2, v12
	s_or_b64 vcc, s[4:5], s[2:3]
	v_addc_co_u32_e32 v12, vcc, 0, v12, vcc
	v_cmp_gt_i32_e32 vcc, 31, v11
	v_cndmask_b32_e32 v7, v0, v7, vcc
	v_cmp_gt_i32_e32 vcc, 31, v13
	v_lshl_or_b32 v5, v5, 9, v0
	v_cndmask_b32_e32 v12, v0, v12, vcc
	v_cmp_eq_u32_e32 vcc, s18, v11
	v_lshrrev_b32_e32 v8, 16, v8
	v_lshl_or_b32 v9, v9, 9, v0
	v_cndmask_b32_e32 v5, v7, v5, vcc
	v_cmp_eq_u32_e32 vcc, s18, v13
	v_lshrrev_b32_e32 v10, 16, v10
	v_cndmask_b32_e32 v7, v12, v9, vcc
	v_and_or_b32 v5, v8, s17, v5
	v_and_or_b32 v7, v10, s17, v7
	v_and_b32_e32 v5, 0xffff, v5
	v_lshl_or_b32 v5, v7, 16, v5
	global_store_dword v[3:4], v5, off
	global_load_dword v5, v26, s[6:7] offset:400
	v_lshrrev_b32_e32 v7, 16, v6
	v_mov_b32_e32 v9, s12
	v_add_co_u32_e32 v3, vcc, s11, v3
	v_addc_co_u32_e32 v4, vcc, v4, v9, vcc
	s_waitcnt vmcnt(0)
	v_mul_f16_sdwa v8, v7, v5 dst_sel:DWORD dst_unused:UNUSED_PAD src0_sel:DWORD src1_sel:WORD_1
	v_fma_f16 v8, v6, v5, v8
	v_mul_f16_sdwa v6, v6, v5 dst_sel:DWORD dst_unused:UNUSED_PAD src0_sel:DWORD src1_sel:WORD_1
	v_cvt_f32_f16_e32 v8, v8
	v_fma_f16 v5, v5, v7, -v6
	v_cvt_f32_f16_e32 v7, v5
	v_cvt_f64_f32_e32 v[5:6], v8
	v_cvt_f64_f32_e32 v[7:8], v7
	v_mul_f64 v[5:6], v[5:6], s[14:15]
	v_mul_f64 v[7:8], v[7:8], s[14:15]
	v_and_or_b32 v5, v6, s16, v5
	v_cmp_ne_u32_e32 vcc, 0, v5
	v_and_or_b32 v7, v8, s16, v7
	v_lshrrev_b32_e32 v9, 8, v6
	v_bfe_u32 v10, v6, 20, 11
	v_cndmask_b32_e64 v5, 0, 1, vcc
	v_cmp_ne_u32_e32 vcc, 0, v7
	v_lshrrev_b32_e32 v11, 8, v8
	v_bfe_u32 v12, v8, 20, 11
	v_sub_u32_e32 v13, 0x3f1, v10
	v_cndmask_b32_e64 v7, 0, 1, vcc
	v_and_or_b32 v5, v9, s10, v5
	v_sub_u32_e32 v14, 0x3f1, v12
	v_med3_i32 v9, v13, 0, 13
	v_and_or_b32 v7, v11, s10, v7
	v_or_b32_e32 v13, 0x1000, v5
	v_add_u32_e32 v10, 0xfffffc10, v10
	v_med3_i32 v11, v14, 0, 13
	v_cmp_ne_u32_e32 vcc, 0, v5
	v_or_b32_e32 v15, 0x1000, v7
	v_lshrrev_b32_e32 v17, v9, v13
	v_add_u32_e32 v12, 0xfffffc10, v12
	v_lshl_or_b32 v14, v10, 12, v5
	v_cndmask_b32_e64 v5, 0, 1, vcc
	v_cmp_ne_u32_e32 vcc, 0, v7
	v_lshrrev_b32_e32 v18, v11, v15
	v_lshlrev_b32_e32 v9, v9, v17
	v_lshl_or_b32 v16, v12, 12, v7
	v_cndmask_b32_e64 v7, 0, 1, vcc
	v_lshlrev_b32_e32 v11, v11, v18
	v_cmp_ne_u32_e32 vcc, v9, v13
	v_cndmask_b32_e64 v9, 0, 1, vcc
	v_cmp_ne_u32_e32 vcc, v11, v15
	v_cndmask_b32_e64 v11, 0, 1, vcc
	v_or_b32_e32 v9, v17, v9
	v_cmp_gt_i32_e32 vcc, 1, v10
	v_cndmask_b32_e32 v9, v14, v9, vcc
	v_or_b32_e32 v11, v18, v11
	v_cmp_gt_i32_e32 vcc, 1, v12
	v_and_b32_e32 v13, 7, v9
	v_cndmask_b32_e32 v11, v16, v11, vcc
	v_cmp_lt_i32_e32 vcc, 5, v13
	v_cmp_eq_u32_e64 s[0:1], 3, v13
	v_lshrrev_b32_e32 v9, 2, v9
	v_and_b32_e32 v14, 7, v11
	s_or_b64 vcc, s[0:1], vcc
	v_cmp_lt_i32_e64 s[2:3], 5, v14
	v_cmp_eq_u32_e64 s[4:5], 3, v14
	v_addc_co_u32_e32 v9, vcc, 0, v9, vcc
	v_lshrrev_b32_e32 v11, 2, v11
	s_or_b64 vcc, s[4:5], s[2:3]
	v_addc_co_u32_e32 v11, vcc, 0, v11, vcc
	v_cmp_gt_i32_e32 vcc, 31, v10
	v_cndmask_b32_e32 v9, v0, v9, vcc
	v_cmp_gt_i32_e32 vcc, 31, v12
	v_lshl_or_b32 v5, v5, 9, v0
	v_cndmask_b32_e32 v11, v0, v11, vcc
	v_cmp_eq_u32_e32 vcc, s18, v10
	v_lshrrev_b32_e32 v6, 16, v6
	v_lshl_or_b32 v7, v7, 9, v0
	v_cndmask_b32_e32 v5, v9, v5, vcc
	v_cmp_eq_u32_e32 vcc, s18, v12
	v_lshrrev_b32_e32 v8, 16, v8
	v_cndmask_b32_e32 v7, v11, v7, vcc
	v_and_or_b32 v5, v6, s17, v5
	v_and_or_b32 v6, v8, s17, v7
	v_and_b32_e32 v5, 0xffff, v5
	v_lshl_or_b32 v5, v6, 16, v5
	global_store_dword v[3:4], v5, off
	global_load_dword v7, v26, s[6:7] offset:440
	ds_read2_b32 v[5:6], v27 offset0:110 offset1:120
	v_add_co_u32_e32 v3, vcc, s11, v3
	s_waitcnt lgkmcnt(0)
	v_lshrrev_b32_e32 v8, 16, v5
	s_waitcnt vmcnt(0)
	v_mul_f16_sdwa v9, v8, v7 dst_sel:DWORD dst_unused:UNUSED_PAD src0_sel:DWORD src1_sel:WORD_1
	v_fma_f16 v9, v5, v7, v9
	v_mul_f16_sdwa v5, v5, v7 dst_sel:DWORD dst_unused:UNUSED_PAD src0_sel:DWORD src1_sel:WORD_1
	v_cvt_f32_f16_e32 v9, v9
	v_fma_f16 v5, v7, v8, -v5
	v_cvt_f32_f16_e32 v5, v5
	v_cvt_f64_f32_e32 v[7:8], v9
	v_cvt_f64_f32_e32 v[9:10], v5
	v_mov_b32_e32 v5, s12
	v_mul_f64 v[7:8], v[7:8], s[14:15]
	v_addc_co_u32_e32 v4, vcc, v4, v5, vcc
	v_mul_f64 v[9:10], v[9:10], s[14:15]
	v_and_or_b32 v5, v8, s16, v7
	v_cmp_ne_u32_e32 vcc, 0, v5
	v_lshrrev_b32_e32 v7, 8, v8
	v_and_or_b32 v9, v10, s16, v9
	v_bfe_u32 v11, v8, 20, 11
	v_cndmask_b32_e64 v5, 0, 1, vcc
	v_cmp_ne_u32_e32 vcc, 0, v9
	v_lshrrev_b32_e32 v12, 8, v10
	v_bfe_u32 v13, v10, 20, 11
	v_sub_u32_e32 v14, 0x3f1, v11
	v_cndmask_b32_e64 v9, 0, 1, vcc
	v_and_or_b32 v5, v7, s10, v5
	v_sub_u32_e32 v15, 0x3f1, v13
	v_med3_i32 v7, v14, 0, 13
	v_and_or_b32 v9, v12, s10, v9
	v_or_b32_e32 v14, 0x1000, v5
	v_add_u32_e32 v11, 0xfffffc10, v11
	v_med3_i32 v12, v15, 0, 13
	v_cmp_ne_u32_e32 vcc, 0, v5
	v_or_b32_e32 v16, 0x1000, v9
	v_lshrrev_b32_e32 v18, v7, v14
	v_add_u32_e32 v13, 0xfffffc10, v13
	v_lshl_or_b32 v15, v11, 12, v5
	v_cndmask_b32_e64 v5, 0, 1, vcc
	v_cmp_ne_u32_e32 vcc, 0, v9
	v_lshrrev_b32_e32 v19, v12, v16
	v_lshlrev_b32_e32 v7, v7, v18
	v_lshl_or_b32 v17, v13, 12, v9
	v_cndmask_b32_e64 v9, 0, 1, vcc
	v_lshlrev_b32_e32 v12, v12, v19
	v_cmp_ne_u32_e32 vcc, v7, v14
	v_cndmask_b32_e64 v7, 0, 1, vcc
	v_cmp_ne_u32_e32 vcc, v12, v16
	v_cndmask_b32_e64 v12, 0, 1, vcc
	v_or_b32_e32 v7, v18, v7
	v_cmp_gt_i32_e32 vcc, 1, v11
	v_cndmask_b32_e32 v7, v15, v7, vcc
	v_or_b32_e32 v12, v19, v12
	v_cmp_gt_i32_e32 vcc, 1, v13
	v_and_b32_e32 v14, 7, v7
	v_cndmask_b32_e32 v12, v17, v12, vcc
	v_cmp_lt_i32_e32 vcc, 5, v14
	v_cmp_eq_u32_e64 s[0:1], 3, v14
	v_lshrrev_b32_e32 v7, 2, v7
	v_and_b32_e32 v15, 7, v12
	s_or_b64 vcc, s[0:1], vcc
	v_cmp_lt_i32_e64 s[2:3], 5, v15
	v_cmp_eq_u32_e64 s[4:5], 3, v15
	v_addc_co_u32_e32 v7, vcc, 0, v7, vcc
	v_lshrrev_b32_e32 v12, 2, v12
	s_or_b64 vcc, s[4:5], s[2:3]
	v_addc_co_u32_e32 v12, vcc, 0, v12, vcc
	v_cmp_gt_i32_e32 vcc, 31, v11
	v_cndmask_b32_e32 v7, v0, v7, vcc
	v_cmp_gt_i32_e32 vcc, 31, v13
	v_lshl_or_b32 v5, v5, 9, v0
	v_cndmask_b32_e32 v12, v0, v12, vcc
	v_cmp_eq_u32_e32 vcc, s18, v11
	v_lshrrev_b32_e32 v8, 16, v8
	v_lshl_or_b32 v9, v9, 9, v0
	v_cndmask_b32_e32 v5, v7, v5, vcc
	v_cmp_eq_u32_e32 vcc, s18, v13
	v_lshrrev_b32_e32 v10, 16, v10
	v_cndmask_b32_e32 v7, v12, v9, vcc
	v_and_or_b32 v5, v8, s17, v5
	v_and_or_b32 v7, v10, s17, v7
	v_and_b32_e32 v5, 0xffff, v5
	v_lshl_or_b32 v5, v7, 16, v5
	global_store_dword v[3:4], v5, off
	global_load_dword v5, v26, s[6:7] offset:480
	v_lshrrev_b32_e32 v7, 16, v6
	v_mov_b32_e32 v9, s12
	v_add_co_u32_e32 v3, vcc, s11, v3
	v_addc_co_u32_e32 v4, vcc, v4, v9, vcc
	s_waitcnt vmcnt(0)
	v_mul_f16_sdwa v8, v7, v5 dst_sel:DWORD dst_unused:UNUSED_PAD src0_sel:DWORD src1_sel:WORD_1
	v_fma_f16 v8, v6, v5, v8
	v_mul_f16_sdwa v6, v6, v5 dst_sel:DWORD dst_unused:UNUSED_PAD src0_sel:DWORD src1_sel:WORD_1
	v_cvt_f32_f16_e32 v8, v8
	v_fma_f16 v5, v5, v7, -v6
	v_cvt_f32_f16_e32 v7, v5
	v_cvt_f64_f32_e32 v[5:6], v8
	v_cvt_f64_f32_e32 v[7:8], v7
	v_mul_f64 v[5:6], v[5:6], s[14:15]
	v_mul_f64 v[7:8], v[7:8], s[14:15]
	v_and_or_b32 v5, v6, s16, v5
	v_cmp_ne_u32_e32 vcc, 0, v5
	v_and_or_b32 v7, v8, s16, v7
	v_lshrrev_b32_e32 v9, 8, v6
	v_bfe_u32 v10, v6, 20, 11
	v_cndmask_b32_e64 v5, 0, 1, vcc
	v_cmp_ne_u32_e32 vcc, 0, v7
	v_lshrrev_b32_e32 v11, 8, v8
	v_bfe_u32 v12, v8, 20, 11
	v_sub_u32_e32 v13, 0x3f1, v10
	v_cndmask_b32_e64 v7, 0, 1, vcc
	v_and_or_b32 v5, v9, s10, v5
	v_sub_u32_e32 v14, 0x3f1, v12
	v_med3_i32 v9, v13, 0, 13
	v_and_or_b32 v7, v11, s10, v7
	v_or_b32_e32 v13, 0x1000, v5
	v_add_u32_e32 v10, 0xfffffc10, v10
	v_med3_i32 v11, v14, 0, 13
	v_cmp_ne_u32_e32 vcc, 0, v5
	v_or_b32_e32 v15, 0x1000, v7
	v_lshrrev_b32_e32 v17, v9, v13
	v_add_u32_e32 v12, 0xfffffc10, v12
	v_lshl_or_b32 v14, v10, 12, v5
	v_cndmask_b32_e64 v5, 0, 1, vcc
	v_cmp_ne_u32_e32 vcc, 0, v7
	v_lshrrev_b32_e32 v18, v11, v15
	v_lshlrev_b32_e32 v9, v9, v17
	v_lshl_or_b32 v16, v12, 12, v7
	v_cndmask_b32_e64 v7, 0, 1, vcc
	v_lshlrev_b32_e32 v11, v11, v18
	v_cmp_ne_u32_e32 vcc, v9, v13
	v_cndmask_b32_e64 v9, 0, 1, vcc
	v_cmp_ne_u32_e32 vcc, v11, v15
	v_cndmask_b32_e64 v11, 0, 1, vcc
	v_or_b32_e32 v9, v17, v9
	v_cmp_gt_i32_e32 vcc, 1, v10
	v_cndmask_b32_e32 v9, v14, v9, vcc
	v_or_b32_e32 v11, v18, v11
	v_cmp_gt_i32_e32 vcc, 1, v12
	v_and_b32_e32 v13, 7, v9
	v_cndmask_b32_e32 v11, v16, v11, vcc
	v_cmp_lt_i32_e32 vcc, 5, v13
	v_cmp_eq_u32_e64 s[0:1], 3, v13
	v_lshrrev_b32_e32 v9, 2, v9
	v_and_b32_e32 v14, 7, v11
	s_or_b64 vcc, s[0:1], vcc
	v_cmp_lt_i32_e64 s[2:3], 5, v14
	v_cmp_eq_u32_e64 s[4:5], 3, v14
	v_addc_co_u32_e32 v9, vcc, 0, v9, vcc
	v_lshrrev_b32_e32 v11, 2, v11
	s_or_b64 vcc, s[4:5], s[2:3]
	v_addc_co_u32_e32 v11, vcc, 0, v11, vcc
	v_cmp_gt_i32_e32 vcc, 31, v10
	v_cndmask_b32_e32 v9, v0, v9, vcc
	v_cmp_gt_i32_e32 vcc, 31, v12
	v_lshl_or_b32 v5, v5, 9, v0
	v_cndmask_b32_e32 v11, v0, v11, vcc
	v_cmp_eq_u32_e32 vcc, s18, v10
	v_lshrrev_b32_e32 v6, 16, v6
	v_lshl_or_b32 v7, v7, 9, v0
	v_cndmask_b32_e32 v5, v9, v5, vcc
	v_cmp_eq_u32_e32 vcc, s18, v12
	v_lshrrev_b32_e32 v8, 16, v8
	v_cndmask_b32_e32 v7, v11, v7, vcc
	v_and_or_b32 v5, v6, s17, v5
	v_and_or_b32 v6, v8, s17, v7
	v_and_b32_e32 v5, 0xffff, v5
	v_lshl_or_b32 v5, v6, 16, v5
	global_store_dword v[3:4], v5, off
	global_load_dword v7, v26, s[6:7] offset:520
	ds_read2_b32 v[5:6], v27 offset0:130 offset1:140
	v_add_co_u32_e32 v3, vcc, s11, v3
	s_waitcnt lgkmcnt(0)
	v_lshrrev_b32_e32 v8, 16, v5
	s_waitcnt vmcnt(0)
	v_mul_f16_sdwa v9, v8, v7 dst_sel:DWORD dst_unused:UNUSED_PAD src0_sel:DWORD src1_sel:WORD_1
	v_fma_f16 v9, v5, v7, v9
	v_mul_f16_sdwa v5, v5, v7 dst_sel:DWORD dst_unused:UNUSED_PAD src0_sel:DWORD src1_sel:WORD_1
	v_cvt_f32_f16_e32 v9, v9
	v_fma_f16 v5, v7, v8, -v5
	v_cvt_f32_f16_e32 v5, v5
	v_cvt_f64_f32_e32 v[7:8], v9
	v_cvt_f64_f32_e32 v[9:10], v5
	v_mov_b32_e32 v5, s12
	v_mul_f64 v[7:8], v[7:8], s[14:15]
	v_addc_co_u32_e32 v4, vcc, v4, v5, vcc
	v_mul_f64 v[9:10], v[9:10], s[14:15]
	v_and_or_b32 v5, v8, s16, v7
	v_cmp_ne_u32_e32 vcc, 0, v5
	v_lshrrev_b32_e32 v7, 8, v8
	v_and_or_b32 v9, v10, s16, v9
	v_bfe_u32 v11, v8, 20, 11
	v_cndmask_b32_e64 v5, 0, 1, vcc
	v_cmp_ne_u32_e32 vcc, 0, v9
	v_lshrrev_b32_e32 v12, 8, v10
	v_bfe_u32 v13, v10, 20, 11
	v_sub_u32_e32 v14, 0x3f1, v11
	v_cndmask_b32_e64 v9, 0, 1, vcc
	v_and_or_b32 v5, v7, s10, v5
	v_sub_u32_e32 v15, 0x3f1, v13
	v_med3_i32 v7, v14, 0, 13
	v_and_or_b32 v9, v12, s10, v9
	v_or_b32_e32 v14, 0x1000, v5
	v_add_u32_e32 v11, 0xfffffc10, v11
	v_med3_i32 v12, v15, 0, 13
	v_cmp_ne_u32_e32 vcc, 0, v5
	v_or_b32_e32 v16, 0x1000, v9
	v_lshrrev_b32_e32 v18, v7, v14
	v_add_u32_e32 v13, 0xfffffc10, v13
	v_lshl_or_b32 v15, v11, 12, v5
	v_cndmask_b32_e64 v5, 0, 1, vcc
	v_cmp_ne_u32_e32 vcc, 0, v9
	v_lshrrev_b32_e32 v19, v12, v16
	v_lshlrev_b32_e32 v7, v7, v18
	v_lshl_or_b32 v17, v13, 12, v9
	v_cndmask_b32_e64 v9, 0, 1, vcc
	v_lshlrev_b32_e32 v12, v12, v19
	v_cmp_ne_u32_e32 vcc, v7, v14
	v_cndmask_b32_e64 v7, 0, 1, vcc
	v_cmp_ne_u32_e32 vcc, v12, v16
	v_cndmask_b32_e64 v12, 0, 1, vcc
	v_or_b32_e32 v7, v18, v7
	v_cmp_gt_i32_e32 vcc, 1, v11
	v_cndmask_b32_e32 v7, v15, v7, vcc
	v_or_b32_e32 v12, v19, v12
	v_cmp_gt_i32_e32 vcc, 1, v13
	v_and_b32_e32 v14, 7, v7
	v_cndmask_b32_e32 v12, v17, v12, vcc
	v_cmp_lt_i32_e32 vcc, 5, v14
	v_cmp_eq_u32_e64 s[0:1], 3, v14
	v_lshrrev_b32_e32 v7, 2, v7
	v_and_b32_e32 v15, 7, v12
	s_or_b64 vcc, s[0:1], vcc
	v_cmp_lt_i32_e64 s[2:3], 5, v15
	v_cmp_eq_u32_e64 s[4:5], 3, v15
	v_addc_co_u32_e32 v7, vcc, 0, v7, vcc
	v_lshrrev_b32_e32 v12, 2, v12
	s_or_b64 vcc, s[4:5], s[2:3]
	v_addc_co_u32_e32 v12, vcc, 0, v12, vcc
	v_cmp_gt_i32_e32 vcc, 31, v11
	v_cndmask_b32_e32 v7, v0, v7, vcc
	v_cmp_gt_i32_e32 vcc, 31, v13
	v_lshl_or_b32 v5, v5, 9, v0
	v_cndmask_b32_e32 v12, v0, v12, vcc
	v_cmp_eq_u32_e32 vcc, s18, v11
	v_lshrrev_b32_e32 v8, 16, v8
	v_lshl_or_b32 v9, v9, 9, v0
	v_cndmask_b32_e32 v5, v7, v5, vcc
	v_cmp_eq_u32_e32 vcc, s18, v13
	v_lshrrev_b32_e32 v10, 16, v10
	v_cndmask_b32_e32 v7, v12, v9, vcc
	v_and_or_b32 v5, v8, s17, v5
	v_and_or_b32 v7, v10, s17, v7
	v_and_b32_e32 v5, 0xffff, v5
	v_lshl_or_b32 v5, v7, 16, v5
	global_store_dword v[3:4], v5, off
	global_load_dword v5, v26, s[6:7] offset:560
	v_lshrrev_b32_e32 v7, 16, v6
	v_mov_b32_e32 v9, s12
	v_add_co_u32_e32 v3, vcc, s11, v3
	v_addc_co_u32_e32 v4, vcc, v4, v9, vcc
	s_waitcnt vmcnt(0)
	v_mul_f16_sdwa v8, v7, v5 dst_sel:DWORD dst_unused:UNUSED_PAD src0_sel:DWORD src1_sel:WORD_1
	v_fma_f16 v8, v6, v5, v8
	v_mul_f16_sdwa v6, v6, v5 dst_sel:DWORD dst_unused:UNUSED_PAD src0_sel:DWORD src1_sel:WORD_1
	v_cvt_f32_f16_e32 v8, v8
	v_fma_f16 v5, v5, v7, -v6
	v_cvt_f32_f16_e32 v7, v5
	v_cvt_f64_f32_e32 v[5:6], v8
	v_cvt_f64_f32_e32 v[7:8], v7
	v_mul_f64 v[5:6], v[5:6], s[14:15]
	v_mul_f64 v[7:8], v[7:8], s[14:15]
	v_and_or_b32 v5, v6, s16, v5
	v_cmp_ne_u32_e32 vcc, 0, v5
	v_and_or_b32 v7, v8, s16, v7
	v_lshrrev_b32_e32 v9, 8, v6
	v_bfe_u32 v10, v6, 20, 11
	v_cndmask_b32_e64 v5, 0, 1, vcc
	v_cmp_ne_u32_e32 vcc, 0, v7
	v_lshrrev_b32_e32 v11, 8, v8
	v_bfe_u32 v12, v8, 20, 11
	v_sub_u32_e32 v13, 0x3f1, v10
	v_cndmask_b32_e64 v7, 0, 1, vcc
	v_and_or_b32 v5, v9, s10, v5
	v_sub_u32_e32 v14, 0x3f1, v12
	v_med3_i32 v9, v13, 0, 13
	v_and_or_b32 v7, v11, s10, v7
	v_or_b32_e32 v13, 0x1000, v5
	v_add_u32_e32 v10, 0xfffffc10, v10
	v_med3_i32 v11, v14, 0, 13
	v_cmp_ne_u32_e32 vcc, 0, v5
	v_or_b32_e32 v15, 0x1000, v7
	v_lshrrev_b32_e32 v17, v9, v13
	v_add_u32_e32 v12, 0xfffffc10, v12
	v_lshl_or_b32 v14, v10, 12, v5
	v_cndmask_b32_e64 v5, 0, 1, vcc
	v_cmp_ne_u32_e32 vcc, 0, v7
	v_lshrrev_b32_e32 v18, v11, v15
	v_lshlrev_b32_e32 v9, v9, v17
	v_lshl_or_b32 v16, v12, 12, v7
	v_cndmask_b32_e64 v7, 0, 1, vcc
	v_lshlrev_b32_e32 v11, v11, v18
	v_cmp_ne_u32_e32 vcc, v9, v13
	v_cndmask_b32_e64 v9, 0, 1, vcc
	v_cmp_ne_u32_e32 vcc, v11, v15
	v_cndmask_b32_e64 v11, 0, 1, vcc
	v_or_b32_e32 v9, v17, v9
	v_cmp_gt_i32_e32 vcc, 1, v10
	v_cndmask_b32_e32 v9, v14, v9, vcc
	v_or_b32_e32 v11, v18, v11
	v_cmp_gt_i32_e32 vcc, 1, v12
	v_and_b32_e32 v13, 7, v9
	v_cndmask_b32_e32 v11, v16, v11, vcc
	v_cmp_lt_i32_e32 vcc, 5, v13
	v_cmp_eq_u32_e64 s[0:1], 3, v13
	v_lshrrev_b32_e32 v9, 2, v9
	v_and_b32_e32 v14, 7, v11
	s_or_b64 vcc, s[0:1], vcc
	v_cmp_lt_i32_e64 s[2:3], 5, v14
	v_cmp_eq_u32_e64 s[4:5], 3, v14
	v_addc_co_u32_e32 v9, vcc, 0, v9, vcc
	v_lshrrev_b32_e32 v11, 2, v11
	s_or_b64 vcc, s[4:5], s[2:3]
	v_addc_co_u32_e32 v11, vcc, 0, v11, vcc
	v_cmp_gt_i32_e32 vcc, 31, v10
	v_cndmask_b32_e32 v9, v0, v9, vcc
	v_cmp_gt_i32_e32 vcc, 31, v12
	v_lshl_or_b32 v5, v5, 9, v0
	v_cndmask_b32_e32 v11, v0, v11, vcc
	v_cmp_eq_u32_e32 vcc, s18, v10
	v_lshrrev_b32_e32 v6, 16, v6
	v_lshl_or_b32 v7, v7, 9, v0
	v_cndmask_b32_e32 v5, v9, v5, vcc
	v_cmp_eq_u32_e32 vcc, s18, v12
	v_lshrrev_b32_e32 v8, 16, v8
	v_cndmask_b32_e32 v7, v11, v7, vcc
	v_and_or_b32 v5, v6, s17, v5
	v_and_or_b32 v6, v8, s17, v7
	v_and_b32_e32 v5, 0xffff, v5
	v_lshl_or_b32 v5, v6, 16, v5
	global_store_dword v[3:4], v5, off
	global_load_dword v7, v26, s[6:7] offset:600
	ds_read2_b32 v[5:6], v27 offset0:150 offset1:160
	v_add_co_u32_e32 v3, vcc, s11, v3
	s_waitcnt lgkmcnt(0)
	v_lshrrev_b32_e32 v8, 16, v5
	s_waitcnt vmcnt(0)
	v_mul_f16_sdwa v9, v8, v7 dst_sel:DWORD dst_unused:UNUSED_PAD src0_sel:DWORD src1_sel:WORD_1
	v_fma_f16 v9, v5, v7, v9
	v_mul_f16_sdwa v5, v5, v7 dst_sel:DWORD dst_unused:UNUSED_PAD src0_sel:DWORD src1_sel:WORD_1
	v_cvt_f32_f16_e32 v9, v9
	v_fma_f16 v5, v7, v8, -v5
	v_cvt_f32_f16_e32 v5, v5
	v_cvt_f64_f32_e32 v[7:8], v9
	v_cvt_f64_f32_e32 v[9:10], v5
	v_mov_b32_e32 v5, s12
	v_mul_f64 v[7:8], v[7:8], s[14:15]
	v_addc_co_u32_e32 v4, vcc, v4, v5, vcc
	v_mul_f64 v[9:10], v[9:10], s[14:15]
	v_and_or_b32 v5, v8, s16, v7
	v_cmp_ne_u32_e32 vcc, 0, v5
	v_lshrrev_b32_e32 v7, 8, v8
	v_and_or_b32 v9, v10, s16, v9
	v_bfe_u32 v11, v8, 20, 11
	v_cndmask_b32_e64 v5, 0, 1, vcc
	v_cmp_ne_u32_e32 vcc, 0, v9
	v_lshrrev_b32_e32 v12, 8, v10
	v_bfe_u32 v13, v10, 20, 11
	v_sub_u32_e32 v14, 0x3f1, v11
	v_cndmask_b32_e64 v9, 0, 1, vcc
	v_and_or_b32 v5, v7, s10, v5
	v_sub_u32_e32 v15, 0x3f1, v13
	v_med3_i32 v7, v14, 0, 13
	v_and_or_b32 v9, v12, s10, v9
	v_or_b32_e32 v14, 0x1000, v5
	v_add_u32_e32 v11, 0xfffffc10, v11
	v_med3_i32 v12, v15, 0, 13
	v_cmp_ne_u32_e32 vcc, 0, v5
	v_or_b32_e32 v16, 0x1000, v9
	v_lshrrev_b32_e32 v18, v7, v14
	v_add_u32_e32 v13, 0xfffffc10, v13
	v_lshl_or_b32 v15, v11, 12, v5
	v_cndmask_b32_e64 v5, 0, 1, vcc
	v_cmp_ne_u32_e32 vcc, 0, v9
	v_lshrrev_b32_e32 v19, v12, v16
	v_lshlrev_b32_e32 v7, v7, v18
	v_lshl_or_b32 v17, v13, 12, v9
	v_cndmask_b32_e64 v9, 0, 1, vcc
	v_lshlrev_b32_e32 v12, v12, v19
	v_cmp_ne_u32_e32 vcc, v7, v14
	v_cndmask_b32_e64 v7, 0, 1, vcc
	v_cmp_ne_u32_e32 vcc, v12, v16
	v_cndmask_b32_e64 v12, 0, 1, vcc
	v_or_b32_e32 v7, v18, v7
	v_cmp_gt_i32_e32 vcc, 1, v11
	v_cndmask_b32_e32 v7, v15, v7, vcc
	v_or_b32_e32 v12, v19, v12
	v_cmp_gt_i32_e32 vcc, 1, v13
	v_and_b32_e32 v14, 7, v7
	v_cndmask_b32_e32 v12, v17, v12, vcc
	v_cmp_lt_i32_e32 vcc, 5, v14
	v_cmp_eq_u32_e64 s[0:1], 3, v14
	v_lshrrev_b32_e32 v7, 2, v7
	v_and_b32_e32 v15, 7, v12
	s_or_b64 vcc, s[0:1], vcc
	v_cmp_lt_i32_e64 s[2:3], 5, v15
	v_cmp_eq_u32_e64 s[4:5], 3, v15
	v_addc_co_u32_e32 v7, vcc, 0, v7, vcc
	v_lshrrev_b32_e32 v12, 2, v12
	s_or_b64 vcc, s[4:5], s[2:3]
	v_addc_co_u32_e32 v12, vcc, 0, v12, vcc
	v_cmp_gt_i32_e32 vcc, 31, v11
	v_cndmask_b32_e32 v7, v0, v7, vcc
	v_cmp_gt_i32_e32 vcc, 31, v13
	v_lshl_or_b32 v5, v5, 9, v0
	v_cndmask_b32_e32 v12, v0, v12, vcc
	v_cmp_eq_u32_e32 vcc, s18, v11
	v_lshrrev_b32_e32 v8, 16, v8
	v_lshl_or_b32 v9, v9, 9, v0
	v_cndmask_b32_e32 v5, v7, v5, vcc
	v_cmp_eq_u32_e32 vcc, s18, v13
	v_lshrrev_b32_e32 v10, 16, v10
	v_cndmask_b32_e32 v7, v12, v9, vcc
	v_and_or_b32 v5, v8, s17, v5
	v_and_or_b32 v7, v10, s17, v7
	v_and_b32_e32 v5, 0xffff, v5
	v_lshl_or_b32 v5, v7, 16, v5
	global_store_dword v[3:4], v5, off
	global_load_dword v5, v26, s[6:7] offset:640
	v_lshrrev_b32_e32 v7, 16, v6
	v_or_b32_e32 v9, 0xa0, v25
	v_mad_u64_u32 v[3:4], s[0:1], s8, v9, 0
	s_waitcnt vmcnt(0)
	v_mul_f16_sdwa v8, v7, v5 dst_sel:DWORD dst_unused:UNUSED_PAD src0_sel:DWORD src1_sel:WORD_1
	v_fma_f16 v8, v6, v5, v8
	v_cvt_f32_f16_e32 v8, v8
	v_mul_f16_sdwa v6, v6, v5 dst_sel:DWORD dst_unused:UNUSED_PAD src0_sel:DWORD src1_sel:WORD_1
	v_fma_f16 v5, v5, v7, -v6
	v_cvt_f32_f16_e32 v7, v5
	v_cvt_f64_f32_e32 v[5:6], v8
	v_cvt_f64_f32_e32 v[7:8], v7
	v_mul_f64 v[5:6], v[5:6], s[14:15]
	v_mul_f64 v[7:8], v[7:8], s[14:15]
	v_mad_u64_u32 v[9:10], s[0:1], s9, v9, v[4:5]
	v_and_or_b32 v5, v6, s16, v5
	v_and_or_b32 v7, v8, s16, v7
	v_cmp_ne_u32_e32 vcc, 0, v5
	v_mov_b32_e32 v4, v9
	v_lshrrev_b32_e32 v9, 8, v6
	v_bfe_u32 v10, v6, 20, 11
	v_cndmask_b32_e64 v5, 0, 1, vcc
	v_cmp_ne_u32_e32 vcc, 0, v7
	v_lshrrev_b32_e32 v11, 8, v8
	v_bfe_u32 v12, v8, 20, 11
	v_sub_u32_e32 v13, 0x3f1, v10
	v_cndmask_b32_e64 v7, 0, 1, vcc
	v_and_or_b32 v5, v9, s10, v5
	v_sub_u32_e32 v14, 0x3f1, v12
	v_med3_i32 v9, v13, 0, 13
	v_and_or_b32 v7, v11, s10, v7
	v_or_b32_e32 v13, 0x1000, v5
	v_add_u32_e32 v10, 0xfffffc10, v10
	v_med3_i32 v11, v14, 0, 13
	v_cmp_ne_u32_e32 vcc, 0, v5
	v_or_b32_e32 v15, 0x1000, v7
	v_lshrrev_b32_e32 v17, v9, v13
	v_add_u32_e32 v12, 0xfffffc10, v12
	v_lshl_or_b32 v14, v10, 12, v5
	v_cndmask_b32_e64 v5, 0, 1, vcc
	v_cmp_ne_u32_e32 vcc, 0, v7
	v_lshrrev_b32_e32 v18, v11, v15
	v_lshlrev_b32_e32 v9, v9, v17
	v_lshl_or_b32 v16, v12, 12, v7
	v_cndmask_b32_e64 v7, 0, 1, vcc
	v_lshlrev_b32_e32 v11, v11, v18
	v_cmp_ne_u32_e32 vcc, v9, v13
	v_cndmask_b32_e64 v9, 0, 1, vcc
	v_cmp_ne_u32_e32 vcc, v11, v15
	v_cndmask_b32_e64 v11, 0, 1, vcc
	v_or_b32_e32 v9, v17, v9
	v_cmp_gt_i32_e32 vcc, 1, v10
	v_cndmask_b32_e32 v9, v14, v9, vcc
	v_or_b32_e32 v11, v18, v11
	v_cmp_gt_i32_e32 vcc, 1, v12
	v_and_b32_e32 v13, 7, v9
	v_cndmask_b32_e32 v11, v16, v11, vcc
	v_cmp_lt_i32_e32 vcc, 5, v13
	v_cmp_eq_u32_e64 s[0:1], 3, v13
	v_lshrrev_b32_e32 v9, 2, v9
	v_and_b32_e32 v14, 7, v11
	s_or_b64 vcc, s[0:1], vcc
	v_cmp_lt_i32_e64 s[2:3], 5, v14
	v_cmp_eq_u32_e64 s[4:5], 3, v14
	v_addc_co_u32_e32 v9, vcc, 0, v9, vcc
	v_lshrrev_b32_e32 v11, 2, v11
	s_or_b64 vcc, s[4:5], s[2:3]
	v_addc_co_u32_e32 v11, vcc, 0, v11, vcc
	v_cmp_gt_i32_e32 vcc, 31, v10
	v_cndmask_b32_e32 v9, v0, v9, vcc
	v_cmp_gt_i32_e32 vcc, 31, v12
	v_lshl_or_b32 v5, v5, 9, v0
	v_lshl_or_b32 v7, v7, 9, v0
	v_cndmask_b32_e32 v0, v0, v11, vcc
	v_cmp_eq_u32_e32 vcc, s18, v10
	v_lshrrev_b32_e32 v6, 16, v6
	v_cndmask_b32_e32 v5, v9, v5, vcc
	v_cmp_eq_u32_e32 vcc, s18, v12
	v_lshlrev_b64 v[3:4], 2, v[3:4]
	v_lshrrev_b32_e32 v8, 16, v8
	v_cndmask_b32_e32 v0, v0, v7, vcc
	v_and_or_b32 v5, v6, s17, v5
	v_and_or_b32 v0, v8, s17, v0
	v_and_b32_e32 v5, 0xffff, v5
	v_lshl_or_b32 v5, v0, 16, v5
	v_add_co_u32_e32 v0, vcc, v1, v3
	v_addc_co_u32_e32 v1, vcc, v2, v4, vcc
	global_store_dword v[0:1], v5, off
.LBB0_15:
	s_endpgm
	.section	.rodata,"a",@progbits
	.p2align	6, 0x0
	.amdhsa_kernel bluestein_single_back_len170_dim1_half_op_CI_CI
		.amdhsa_group_segment_fixed_size 4760
		.amdhsa_private_segment_fixed_size 0
		.amdhsa_kernarg_size 104
		.amdhsa_user_sgpr_count 6
		.amdhsa_user_sgpr_private_segment_buffer 1
		.amdhsa_user_sgpr_dispatch_ptr 0
		.amdhsa_user_sgpr_queue_ptr 0
		.amdhsa_user_sgpr_kernarg_segment_ptr 1
		.amdhsa_user_sgpr_dispatch_id 0
		.amdhsa_user_sgpr_flat_scratch_init 0
		.amdhsa_user_sgpr_private_segment_size 0
		.amdhsa_uses_dynamic_stack 0
		.amdhsa_system_sgpr_private_segment_wavefront_offset 0
		.amdhsa_system_sgpr_workgroup_id_x 1
		.amdhsa_system_sgpr_workgroup_id_y 0
		.amdhsa_system_sgpr_workgroup_id_z 0
		.amdhsa_system_sgpr_workgroup_info 0
		.amdhsa_system_vgpr_workitem_id 0
		.amdhsa_next_free_vgpr 255
		.amdhsa_next_free_sgpr 41
		.amdhsa_reserve_vcc 1
		.amdhsa_reserve_flat_scratch 0
		.amdhsa_float_round_mode_32 0
		.amdhsa_float_round_mode_16_64 0
		.amdhsa_float_denorm_mode_32 3
		.amdhsa_float_denorm_mode_16_64 3
		.amdhsa_dx10_clamp 1
		.amdhsa_ieee_mode 1
		.amdhsa_fp16_overflow 0
		.amdhsa_exception_fp_ieee_invalid_op 0
		.amdhsa_exception_fp_denorm_src 0
		.amdhsa_exception_fp_ieee_div_zero 0
		.amdhsa_exception_fp_ieee_overflow 0
		.amdhsa_exception_fp_ieee_underflow 0
		.amdhsa_exception_fp_ieee_inexact 0
		.amdhsa_exception_int_div_zero 0
	.end_amdhsa_kernel
	.text
.Lfunc_end0:
	.size	bluestein_single_back_len170_dim1_half_op_CI_CI, .Lfunc_end0-bluestein_single_back_len170_dim1_half_op_CI_CI
                                        ; -- End function
	.section	.AMDGPU.csdata,"",@progbits
; Kernel info:
; codeLenInByte = 24964
; NumSgprs: 45
; NumVgprs: 255
; ScratchSize: 0
; MemoryBound: 0
; FloatMode: 240
; IeeeMode: 1
; LDSByteSize: 4760 bytes/workgroup (compile time only)
; SGPRBlocks: 5
; VGPRBlocks: 63
; NumSGPRsForWavesPerEU: 45
; NumVGPRsForWavesPerEU: 255
; Occupancy: 1
; WaveLimiterHint : 1
; COMPUTE_PGM_RSRC2:SCRATCH_EN: 0
; COMPUTE_PGM_RSRC2:USER_SGPR: 6
; COMPUTE_PGM_RSRC2:TRAP_HANDLER: 0
; COMPUTE_PGM_RSRC2:TGID_X_EN: 1
; COMPUTE_PGM_RSRC2:TGID_Y_EN: 0
; COMPUTE_PGM_RSRC2:TGID_Z_EN: 0
; COMPUTE_PGM_RSRC2:TIDIG_COMP_CNT: 0
	.type	__hip_cuid_539a7203d62a3fef,@object ; @__hip_cuid_539a7203d62a3fef
	.section	.bss,"aw",@nobits
	.globl	__hip_cuid_539a7203d62a3fef
__hip_cuid_539a7203d62a3fef:
	.byte	0                               ; 0x0
	.size	__hip_cuid_539a7203d62a3fef, 1

	.ident	"AMD clang version 19.0.0git (https://github.com/RadeonOpenCompute/llvm-project roc-6.4.0 25133 c7fe45cf4b819c5991fe208aaa96edf142730f1d)"
	.section	".note.GNU-stack","",@progbits
	.addrsig
	.addrsig_sym __hip_cuid_539a7203d62a3fef
	.amdgpu_metadata
---
amdhsa.kernels:
  - .args:
      - .actual_access:  read_only
        .address_space:  global
        .offset:         0
        .size:           8
        .value_kind:     global_buffer
      - .actual_access:  read_only
        .address_space:  global
        .offset:         8
        .size:           8
        .value_kind:     global_buffer
      - .actual_access:  read_only
        .address_space:  global
        .offset:         16
        .size:           8
        .value_kind:     global_buffer
      - .actual_access:  read_only
        .address_space:  global
        .offset:         24
        .size:           8
        .value_kind:     global_buffer
      - .actual_access:  read_only
        .address_space:  global
        .offset:         32
        .size:           8
        .value_kind:     global_buffer
      - .offset:         40
        .size:           8
        .value_kind:     by_value
      - .address_space:  global
        .offset:         48
        .size:           8
        .value_kind:     global_buffer
      - .address_space:  global
        .offset:         56
        .size:           8
        .value_kind:     global_buffer
      - .address_space:  global
        .offset:         64
        .size:           8
        .value_kind:     global_buffer
      - .address_space:  global
        .offset:         72
        .size:           8
        .value_kind:     global_buffer
      - .offset:         80
        .size:           4
        .value_kind:     by_value
      - .address_space:  global
        .offset:         88
        .size:           8
        .value_kind:     global_buffer
      - .address_space:  global
        .offset:         96
        .size:           8
        .value_kind:     global_buffer
    .group_segment_fixed_size: 4760
    .kernarg_segment_align: 8
    .kernarg_segment_size: 104
    .language:       OpenCL C
    .language_version:
      - 2
      - 0
    .max_flat_workgroup_size: 119
    .name:           bluestein_single_back_len170_dim1_half_op_CI_CI
    .private_segment_fixed_size: 0
    .sgpr_count:     45
    .sgpr_spill_count: 0
    .symbol:         bluestein_single_back_len170_dim1_half_op_CI_CI.kd
    .uniform_work_group_size: 1
    .uses_dynamic_stack: false
    .vgpr_count:     255
    .vgpr_spill_count: 0
    .wavefront_size: 64
amdhsa.target:   amdgcn-amd-amdhsa--gfx906
amdhsa.version:
  - 1
  - 2
...

	.end_amdgpu_metadata
